;; amdgpu-corpus repo=ggml-org/llama.cpp kind=compiled arch=gfx906 opt=O3
	.amdgcn_target "amdgcn-amd-amdhsa--gfx906"
	.amdhsa_code_object_version 6
	.section	.text._ZL15flash_attn_tileILi576ELi512ELi2ELi16ELb0EEvPKcS1_S1_S1_S1_PKiPfP15HIP_vector_typeIfLj2EEffffjfiS5_IjLj3EEiiiiiiiiiiiliiliiiiil,"axG",@progbits,_ZL15flash_attn_tileILi576ELi512ELi2ELi16ELb0EEvPKcS1_S1_S1_S1_PKiPfP15HIP_vector_typeIfLj2EEffffjfiS5_IjLj3EEiiiiiiiiiiiliiliiiiil,comdat
	.globl	_ZL15flash_attn_tileILi576ELi512ELi2ELi16ELb0EEvPKcS1_S1_S1_S1_PKiPfP15HIP_vector_typeIfLj2EEffffjfiS5_IjLj3EEiiiiiiiiiiiliiliiiiil ; -- Begin function _ZL15flash_attn_tileILi576ELi512ELi2ELi16ELb0EEvPKcS1_S1_S1_S1_PKiPfP15HIP_vector_typeIfLj2EEffffjfiS5_IjLj3EEiiiiiiiiiiiliiliiiiil
	.p2align	8
	.type	_ZL15flash_attn_tileILi576ELi512ELi2ELi16ELb0EEvPKcS1_S1_S1_S1_PKiPfP15HIP_vector_typeIfLj2EEffffjfiS5_IjLj3EEiiiiiiiiiiiliiliiiiil,@function
_ZL15flash_attn_tileILi576ELi512ELi2ELi16ELb0EEvPKcS1_S1_S1_S1_PKiPfP15HIP_vector_typeIfLj2EEffffjfiS5_IjLj3EEiiiiiiiiiiiliiliiiiil: ; @_ZL15flash_attn_tileILi576ELi512ELi2ELi16ELb0EEvPKcS1_S1_S1_S1_PKiPfP15HIP_vector_typeIfLj2EEffffjfiS5_IjLj3EEiiiiiiiiiiiliiliiiiil
; %bb.0:
	s_load_dwordx4 s[0:3], s[4:5], 0x5c
	s_load_dwordx2 s[24:25], s[4:5], 0x80
	s_load_dwordx2 s[28:29], s[4:5], 0xb8
	s_mov_b64 s[26:27], 0
	s_waitcnt lgkmcnt(0)
	s_ashr_i32 s9, s3, 31
	s_lshr_b32 s9, s9, 28
	s_add_i32 s9, s3, s9
	s_ashr_i32 s9, s9, 4
	v_cvt_f32_u32_e32 v2, s9
	s_sub_i32 s10, 0, s9
	v_rcp_iflag_f32_e32 v2, v2
	v_mul_f32_e32 v2, 0x4f7ffffe, v2
	v_cvt_u32_f32_e32 v2, v2
	v_readfirstlane_b32 s11, v2
	s_mul_i32 s10, s10, s11
	s_mul_hi_u32 s10, s11, s10
	s_add_i32 s11, s11, s10
	s_mul_hi_u32 s10, s8, s11
	s_mul_i32 s11, s10, s9
	s_sub_i32 s11, s8, s11
	s_add_i32 s12, s10, 1
	s_sub_i32 s13, s11, s9
	s_cmp_ge_u32 s11, s9
	s_cselect_b32 s10, s12, s10
	s_cselect_b32 s11, s13, s11
	s_add_i32 s12, s10, 1
	s_cmp_ge_u32 s11, s9
	s_cselect_b32 s30, s12, s10
	s_abs_i32 s9, s25
	v_cvt_f32_u32_e32 v2, s9
	s_lshl_b32 s8, s8, 4
	s_mul_i32 s12, s30, s3
	s_xor_b32 s10, s3, s25
	v_rcp_iflag_f32_e32 v2, v2
	s_sub_i32 s13, 0, s9
	s_sub_i32 s25, s8, s12
	s_abs_i32 s11, s3
	v_mul_f32_e32 v2, 0x4f7ffffe, v2
	v_cvt_u32_f32_e32 v2, v2
	s_ashr_i32 s10, s10, 31
	v_readfirstlane_b32 s8, v2
	s_mul_i32 s13, s13, s8
	s_mul_hi_u32 s12, s8, s13
	s_add_i32 s8, s8, s12
	s_mul_hi_u32 s8, s11, s8
	s_mul_i32 s12, s8, s9
	s_sub_i32 s11, s11, s12
	s_add_i32 s13, s8, 1
	s_sub_i32 s12, s11, s9
	s_cmp_ge_u32 s11, s9
	s_cselect_b32 s8, s13, s8
	s_cselect_b32 s11, s12, s11
	s_add_i32 s12, s8, 1
	s_cmp_ge_u32 s11, s9
	s_cselect_b32 s8, s12, s8
	s_xor_b32 s8, s8, s10
	s_sub_i32 s33, s8, s10
	s_abs_i32 s31, s33
	v_cvt_f32_u32_e32 v2, s31
	s_load_dwordx16 s[8:23], s[4:5], 0x0
	v_rcp_iflag_f32_e32 v2, v2
	s_waitcnt lgkmcnt(0)
	s_cmp_eq_u64 s[14:15], 0
	v_mul_f32_e32 v2, 0x4f7ffffe, v2
	v_cvt_u32_f32_e32 v2, v2
	v_readfirstlane_b32 s34, v2
	s_cbranch_scc1 .LBB0_2
; %bb.1:
	s_abs_i32 s28, s28
	v_cvt_f32_u32_e32 v2, s28
	s_sub_i32 s37, 0, s28
	s_abs_i32 s36, s30
	s_ashr_i32 s35, s30, 31
	v_rcp_iflag_f32_e32 v2, v2
	s_load_dwordx2 s[26:27], s[4:5], 0xc8
	v_mul_f32_e32 v2, 0x4f7ffffe, v2
	v_cvt_u32_f32_e32 v2, v2
	v_readfirstlane_b32 s38, v2
	s_mul_i32 s37, s37, s38
	s_mul_hi_u32 s37, s38, s37
	s_add_i32 s38, s38, s37
	s_mul_hi_u32 s37, s36, s38
	s_mul_i32 s37, s37, s28
	s_sub_i32 s36, s36, s37
	s_sub_i32 s37, s36, s28
	s_cmp_ge_u32 s36, s28
	s_cselect_b32 s36, s37, s36
	s_sub_i32 s37, s36, s28
	s_cmp_ge_u32 s36, s28
	s_cselect_b32 s28, s37, s36
	s_xor_b32 s28, s28, s35
	s_sub_i32 s28, s28, s35
	s_ashr_i32 s35, s28, 31
	s_waitcnt lgkmcnt(0)
	s_mul_hi_u32 s36, s26, s28
	s_mul_i32 s35, s26, s35
	s_mul_i32 s27, s27, s28
	s_add_i32 s35, s36, s35
	s_add_i32 s35, s35, s27
	s_mul_i32 s26, s26, s28
	s_add_u32 s26, s14, s26
	s_addc_u32 s27, s15, s35
.LBB0_2:
	v_lshrrev_b32_e32 v2, 3, v1
	s_load_dwordx4 s[36:39], s[4:5], 0x70
	v_lshl_add_u32 v20, s6, 1, v2
	v_mul_hi_u32 v2, s0, v20
	v_lshlrev_b32_e32 v5, 1, v1
	v_and_b32_e32 v21, 14, v5
	s_waitcnt lgkmcnt(0)
	s_mul_i32 s0, s30, s38
	v_add_u32_e32 v2, v20, v2
	s_ashr_i32 s15, s0, 31
	v_lshrrev_b32_e32 v2, s1, v2
	s_mul_i32 s14, s25, s37
	s_add_u32 s0, s8, s0
	v_mul_lo_u32 v2, v2, s2
	s_addc_u32 s8, s9, s15
	s_ashr_i32 s9, s14, 31
	s_add_u32 s28, s0, s14
	s_addc_u32 s14, s8, s9
	s_ashr_i32 s9, s37, 31
	s_mov_b32 s8, s37
	s_ashr_i32 s37, s36, 31
	v_sub_u32_e32 v4, v20, v2
	s_lshr_b64 s[0:1], s[36:37], 2
	v_mad_u64_u32 v[2:3], s[0:1], s0, v4, 0
	s_lshr_b32 s0, s37, 2
	v_lshlrev_b32_e32 v8, 4, v0
	v_mad_u64_u32 v[6:7], s[0:1], s0, v4, v[3:4]
	s_lshr_b64 s[0:1], s[8:9], 2
	s_lshr_b32 s8, s9, 2
	v_mov_b32_e32 v3, v6
	v_mov_b32_e32 v6, s14
	v_mad_u64_u32 v[9:10], s[14:15], s0, v21, 0
	v_lshlrev_b64 v[2:3], 2, v[2:3]
	s_load_dword s14, s[4:5], 0x40
	v_add_co_u32_e32 v7, vcc, s28, v2
	v_mov_b32_e32 v2, v10
	v_addc_co_u32_e32 v6, vcc, v6, v3, vcc
	v_mad_u64_u32 v[2:3], s[8:9], s8, v21, v[2:3]
	v_add_co_u32_e32 v7, vcc, v7, v8
	v_mov_b32_e32 v10, v2
	v_lshlrev_b64 v[2:3], 2, v[9:10]
	v_addc_co_u32_e32 v8, vcc, 0, v6, vcc
	v_add_co_u32_e32 v2, vcc, v7, v2
	v_addc_co_u32_e32 v3, vcc, v8, v3, vcc
	global_load_dwordx4 v[9:12], v[2:3], off
	global_load_dwordx4 v[13:16], v[2:3], off offset:512
	global_load_dwordx4 v[24:27], v[2:3], off offset:1024
	;; [unrolled: 1-line block ×3, first 2 shown]
	v_lshlrev_b32_e32 v6, 3, v0
	s_movk_i32 s8, 0x900
	v_mul_u32_u24_e32 v23, 0x900, v1
	v_mad_u32_u24 v17, v1, s8, v6
	v_cmp_gt_u32_e32 vcc, 16, v0
	s_waitcnt vmcnt(3) lgkmcnt(0)
	v_fma_mixlo_f16 v9, s14, v9, 0
	v_fma_mixlo_f16 v10, s14, v10, 0
	;; [unrolled: 1-line block ×4, first 2 shown]
	s_waitcnt vmcnt(2)
	v_fma_mixlo_f16 v13, s14, v13, 0
	v_fma_mixlo_f16 v14, s14, v14, 0
	;; [unrolled: 1-line block ×4, first 2 shown]
	s_waitcnt vmcnt(1)
	v_fma_mixlo_f16 v18, s14, v24, 0
	v_fma_mixlo_f16 v19, s14, v25, 0
	;; [unrolled: 1-line block ×3, first 2 shown]
	s_waitcnt vmcnt(0)
	v_fma_mixlo_f16 v25, s14, v28, 0
	v_fma_mixlo_f16 v26, s14, v29, 0
	v_lshlrev_b32_e32 v10, 16, v10
	v_and_b32_e32 v9, 0xffff, v9
	v_lshlrev_b32_e32 v12, 16, v12
	v_and_b32_e32 v11, 0xffff, v11
	;; [unrolled: 2-line block ×3, first 2 shown]
	v_fma_mixlo_f16 v24, s14, v27, 0
	v_fma_mixlo_f16 v27, s14, v30, 0
	;; [unrolled: 1-line block ×3, first 2 shown]
	v_lshlrev_b32_e32 v16, 16, v16
	v_and_b32_e32 v15, 0xffff, v15
	v_lshlrev_b32_e32 v19, 16, v19
	v_and_b32_e32 v18, 0xffff, v18
	;; [unrolled: 2-line block ×3, first 2 shown]
	v_or_b32_e32 v9, v10, v9
	v_or3_b32 v10, v12, v11, 0
	v_or_b32_e32 v11, v14, v13
	v_lshlrev_b32_e32 v24, 16, v24
	v_and_b32_e32 v22, 0xffff, v22
	v_lshlrev_b32_e32 v28, 16, v28
	v_and_b32_e32 v27, 0xffff, v27
	v_or3_b32 v12, v16, v15, 0
	v_or_b32_e32 v13, v19, v18
	v_or_b32_e32 v15, v26, v25
	v_or3_b32 v9, 0, 0, v9
	v_or3_b32 v11, 0, 0, v11
	;; [unrolled: 1-line block ×6, first 2 shown]
	ds_write2_b64 v17, v[9:10], v[11:12] offset1:32
	ds_write2_b64 v17, v[13:14], v[15:16] offset0:64 offset1:96
	s_and_saveexec_b64 s[8:9], vcc
	s_cbranch_execz .LBB0_4
; %bb.3:
	global_load_dwordx4 v[9:12], v[2:3], off offset:2048
	s_waitcnt vmcnt(0)
	v_fma_mixlo_f16 v2, s14, v9, 0
	v_fma_mixlo_f16 v3, s14, v10, 0
	;; [unrolled: 1-line block ×4, first 2 shown]
	v_lshlrev_b32_e32 v3, 16, v3
	v_and_b32_e32 v2, 0xffff, v2
	v_lshlrev_b32_e32 v10, 16, v10
	v_and_b32_e32 v9, 0xffff, v9
	v_or_b32_e32 v2, v3, v2
	v_or3_b32 v3, v10, v9, 0
	v_or3_b32 v2, 0, 0, v2
	v_add_u32_e32 v9, v6, v23
	ds_write_b64 v9, v[2:3] offset:1024
.LBB0_4:
	s_or_b64 exec, exec, s[8:9]
	v_or_b32_e32 v5, 1, v5
	v_and_b32_e32 v9, 15, v5
	v_mad_u64_u32 v[2:3], s[8:9], s0, v9, 0
	v_mad_u64_u32 v[9:10], s[0:1], s1, v9, v[3:4]
	v_mov_b32_e32 v3, v9
	v_lshlrev_b64 v[2:3], 2, v[2:3]
	v_add_co_u32_e64 v2, s[0:1], v7, v2
	v_addc_co_u32_e64 v3, s[0:1], v8, v3, s[0:1]
	global_load_dwordx4 v[7:10], v[2:3], off
	global_load_dwordx4 v[11:14], v[2:3], off offset:512
	global_load_dwordx4 v[15:18], v[2:3], off offset:1024
	;; [unrolled: 1-line block ×3, first 2 shown]
	s_movk_i32 s0, 0x480
	v_mad_u32_u24 v19, v5, s0, v6
	s_waitcnt vmcnt(3)
	v_fma_mixlo_f16 v7, s14, v7, 0
	v_fma_mixlo_f16 v8, s14, v8, 0
	;; [unrolled: 1-line block ×4, first 2 shown]
	s_waitcnt vmcnt(2)
	v_fma_mixlo_f16 v11, s14, v11, 0
	v_fma_mixlo_f16 v12, s14, v12, 0
	;; [unrolled: 1-line block ×4, first 2 shown]
	s_waitcnt vmcnt(1)
	v_fma_mixlo_f16 v15, s14, v15, 0
	v_fma_mixlo_f16 v16, s14, v16, 0
	s_waitcnt vmcnt(0)
	v_fma_mixlo_f16 v22, s14, v24, 0
	v_fma_mixlo_f16 v24, s14, v25, 0
	v_lshlrev_b32_e32 v8, 16, v8
	v_and_b32_e32 v7, 0xffff, v7
	v_lshlrev_b32_e32 v10, 16, v10
	v_and_b32_e32 v9, 0xffff, v9
	;; [unrolled: 2-line block ×3, first 2 shown]
	v_fma_mixlo_f16 v17, s14, v17, 0
	v_fma_mixlo_f16 v18, s14, v18, 0
	;; [unrolled: 1-line block ×4, first 2 shown]
	v_lshlrev_b32_e32 v14, 16, v14
	v_and_b32_e32 v13, 0xffff, v13
	v_lshlrev_b32_e32 v16, 16, v16
	v_and_b32_e32 v15, 0xffff, v15
	;; [unrolled: 2-line block ×3, first 2 shown]
	v_or_b32_e32 v7, v8, v7
	v_or3_b32 v8, v10, v9, 0
	v_or_b32_e32 v9, v12, v11
	v_lshlrev_b32_e32 v18, 16, v18
	v_and_b32_e32 v17, 0xffff, v17
	v_lshlrev_b32_e32 v26, 16, v26
	v_and_b32_e32 v25, 0xffff, v25
	v_or3_b32 v10, v14, v13, 0
	v_or_b32_e32 v11, v16, v15
	v_or_b32_e32 v13, v24, v22
	v_or3_b32 v7, 0, 0, v7
	v_or3_b32 v9, 0, 0, v9
	v_or3_b32 v12, v18, v17, 0
	v_or3_b32 v14, v26, v25, 0
	v_or3_b32 v11, 0, 0, v11
	v_or3_b32 v13, 0, 0, v13
	ds_write2_b64 v19, v[7:8], v[9:10] offset1:32
	ds_write2_b64 v19, v[11:12], v[13:14] offset0:64 offset1:96
	s_and_saveexec_b64 s[0:1], vcc
	s_cbranch_execz .LBB0_6
; %bb.5:
	global_load_dwordx4 v[7:10], v[2:3], off offset:2048
	v_mul_u32_u24_e32 v5, 0x480, v5
	v_add_u32_e32 v5, v6, v5
	s_waitcnt vmcnt(0)
	v_fma_mixlo_f16 v2, s14, v7, 0
	v_fma_mixlo_f16 v3, s14, v8, 0
	;; [unrolled: 1-line block ×4, first 2 shown]
	v_lshlrev_b32_e32 v3, 16, v3
	v_and_b32_e32 v2, 0xffff, v2
	v_lshlrev_b32_e32 v8, 16, v8
	v_and_b32_e32 v7, 0xffff, v7
	v_or_b32_e32 v2, v3, v2
	v_or3_b32 v3, v8, v7, 0
	v_or3_b32 v2, 0, 0, v2
	ds_write_b64 v5, v[2:3] offset:1024
.LBB0_6:
	s_or_b64 exec, exec, s[0:1]
	s_cmp_eq_u64 s[18:19], 0
	s_waitcnt lgkmcnt(0)
	s_barrier
	s_cbranch_scc1 .LBB0_8
; %bb.7:
	s_load_dword s0, s[4:5], 0xd0
	s_mov_b32 s1, 0
	s_waitcnt lgkmcnt(0)
	s_mul_i32 s0, s0, s30
	s_add_i32 s0, s0, s6
	s_lshl_b64 s[0:1], s[0:1], 2
	s_add_u32 s0, s18, s0
	s_addc_u32 s1, s19, s1
	s_load_dword s24, s[0:1], 0x0
.LBB0_8:
	s_lshl_b32 s6, s7, 7
	v_lshlrev_b32_e32 v22, 2, v0
	s_waitcnt lgkmcnt(0)
	s_cmp_lt_i32 s6, s24
	v_mbcnt_lo_u32_b32 v2, -1, 0
	s_cbranch_scc1 .LBB0_11
; %bb.9:
	v_mbcnt_hi_u32_b32 v24, -1, v2
	v_and_b32_e32 v3, 0x60, v24
	v_add_u32_e32 v25, 32, v3
	v_xor_b32_e32 v30, 16, v24
	v_xor_b32_e32 v29, 8, v24
	;; [unrolled: 1-line block ×5, first 2 shown]
	s_cbranch_execz .LBB0_12
; %bb.10:
	v_mov_b32_e32 v53, 0
	v_mov_b32_e32 v31, 0
	;; [unrolled: 1-line block ×20, first 2 shown]
	s_branch .LBB0_14
.LBB0_11:
                                        ; implicit-def: $vgpr24
                                        ; implicit-def: $vgpr25
                                        ; implicit-def: $vgpr30
                                        ; implicit-def: $vgpr29
                                        ; implicit-def: $vgpr28
                                        ; implicit-def: $vgpr27
                                        ; implicit-def: $vgpr26
.LBB0_12:
	s_sub_i32 s0, 0, s31
	s_mul_i32 s0, s0, s34
	s_mul_hi_u32 s0, s34, s0
	s_add_i32 s34, s34, s0
	s_load_dwordx2 s[0:1], s[4:5], 0x8c
	s_load_dwordx4 s[36:39], s[4:5], 0x98
	s_abs_i32 s18, s25
	s_mul_hi_u32 s19, s18, s34
	s_ashr_i32 s28, s25, 31
	s_waitcnt lgkmcnt(0)
	s_ashr_i32 s9, s0, 2
	s_ashr_i32 s0, s30, 31
	s_mul_hi_u32 s34, s36, s30
	s_mul_i32 s35, s36, s0
	s_add_i32 s34, s34, s35
	s_mul_i32 s35, s37, s30
	s_ashr_i32 s33, s33, 31
	s_ashr_i32 s8, s38, 2
	;; [unrolled: 1-line block ×3, first 2 shown]
	s_add_i32 s34, s34, s35
	s_mul_i32 s35, s36, s30
	s_add_u32 s10, s10, s35
	s_addc_u32 s11, s11, s34
	s_xor_b32 s28, s28, s33
	s_mul_i32 s33, s19, s31
	s_sub_i32 s18, s18, s33
	s_add_i32 s33, s19, 1
	s_sub_i32 s34, s18, s31
	s_cmp_ge_u32 s18, s31
	s_cselect_b32 s19, s33, s19
	s_cselect_b32 s18, s34, s18
	s_add_i32 s33, s19, 1
	s_cmp_ge_u32 s18, s31
	s_load_dwordx2 s[14:15], s[4:5], 0xa8
	s_cselect_b32 s18, s33, s19
	s_xor_b32 s18, s18, s28
	s_sub_i32 s18, s18, s28
	s_mul_i32 s1, s18, s1
	s_ashr_i32 s19, s1, 31
	s_add_u32 s10, s10, s1
	s_waitcnt lgkmcnt(0)
	s_mul_hi_u32 s1, s14, s30
	s_mul_i32 s0, s14, s0
	s_addc_u32 s11, s11, s19
	s_add_i32 s0, s1, s0
	s_mul_i32 s1, s15, s30
	s_add_i32 s0, s0, s1
	s_mul_i32 s1, s14, s30
	s_add_u32 s1, s12, s1
	s_mul_i32 s18, s18, s39
	s_addc_u32 s0, s13, s0
	s_ashr_i32 s12, s18, 31
	s_add_u32 s13, s1, s18
	v_lshrrev_b32_e32 v3, 3, v0
	v_and_b32_e32 v11, 28, v22
	s_addc_u32 s12, s0, s12
	v_lshl_add_u32 v3, v1, 2, v3
	v_lshlrev_b32_e32 v8, 2, v11
	s_movk_i32 s0, 0x90
	v_mul_lo_u32 v7, s9, v3
	v_mad_u32_u24 v3, v3, s0, v8
	v_add_u32_e32 v32, 0x9000, v3
	v_add_u32_e32 v33, 0xb400, v3
	v_mov_b32_e32 v3, 0x9000
	v_mad_u32_u24 v34, v0, s0, v3
	v_mov_b32_e32 v3, 0xd800
	v_lshl_add_u32 v35, v1, 9, v3
	v_mul_lo_u32 v3, s8, v1
	v_mad_u64_u32 v[13:14], s[0:1], v4, s29, v[0:1]
	v_lshl_add_u32 v9, s9, 6, v7
	v_ashrrev_i32_e32 v4, 31, v3
	v_lshlrev_b64 v[3:4], 2, v[3:4]
	v_lshlrev_b32_e32 v12, 2, v22
	v_mov_b32_e32 v14, s12
	v_add_co_u32_e32 v3, vcc, s13, v3
	v_ashrrev_i32_e32 v8, 31, v7
	v_ashrrev_i32_e32 v10, 31, v9
	v_lshl_add_u32 v1, v1, 10, v12
	v_addc_co_u32_e32 v4, vcc, v14, v4, vcc
	v_mbcnt_hi_u32_b32 v24, -1, v2
	v_add_u32_e32 v36, 0x9000, v1
	v_add_u32_e32 v37, 0x9200, v1
	v_or_b32_e32 v38, 0x9000, v6
	s_add_u32 s0, s4, 0xd0
	v_add_co_u32_e32 v39, vcc, v3, v12
	v_lshlrev_b64 v[14:15], 2, v[7:8]
	v_lshlrev_b64 v[16:17], 2, v[9:10]
	v_and_b32_e32 v1, 0x60, v24
	v_mov_b32_e32 v5, 0
	s_addc_u32 s1, s5, 0
	v_addc_co_u32_e32 v40, vcc, 0, v4, vcc
	v_mov_b32_e32 v18, 0xfeffffff
	v_lshlrev_b32_e32 v41, 2, v11
	v_add_u32_e32 v25, 32, v1
	v_xor_b32_e32 v30, 16, v24
	v_xor_b32_e32 v29, 8, v24
	;; [unrolled: 1-line block ×5, first 2 shown]
	v_mov_b32_e32 v42, s27
	s_mov_b32 s12, 0x3fb8aa3b
	s_mov_b32 s13, 0xc2ce8ed0
	;; [unrolled: 1-line block ×3, first 2 shown]
	v_mov_b32_e32 v43, 0x7f800000
	s_mov_b32 s15, 0x10001
	v_add_u32_e32 v44, v35, v22
	v_add_u32_e32 v45, 0x800, v38
	;; [unrolled: 1-line block ×8, first 2 shown]
	v_mov_b32_e32 v7, 0
	v_mov_b32_e32 v9, 0
	v_mov_b32_e32 v8, 0
	v_mov_b32_e32 v11, 0
	v_mov_b32_e32 v10, 0
	v_mov_b32_e32 v12, 0
	v_mov_b32_e32 v6, 0
	v_mov_b32_e32 v55, 0
	v_mov_b32_e32 v54, 0
	v_mov_b32_e32 v57, 0
	v_mov_b32_e32 v56, 0
	v_mov_b32_e32 v59, 0
	v_mov_b32_e32 v58, 0
	v_mov_b32_e32 v60, 0
	v_mov_b32_e32 v53, 0
	v_mov_b32_e32 v19, 0xfeffffff
	v_mov_b32_e32 v52, 0
	v_mov_b32_e32 v31, 0
.LBB0_13:                               ; =>This Inner Loop Header: Depth=1
	s_mul_hi_i32 s19, s6, s9
	s_mul_i32 s18, s6, s9
	s_lshl_b64 s[18:19], s[18:19], 2
	s_add_u32 s18, s10, s18
	s_addc_u32 s19, s11, s19
	v_add_co_u32_e32 v1, vcc, s18, v14
	v_mov_b32_e32 v2, s19
	v_addc_co_u32_e32 v2, vcc, v2, v15, vcc
	v_add_co_u32_e32 v1, vcc, v1, v41
	v_addc_co_u32_e32 v2, vcc, 0, v2, vcc
	global_load_dwordx4 v[63:66], v[1:2], off
	v_add_co_u32_e32 v3, vcc, s18, v16
	v_mov_b32_e32 v4, s19
	v_addc_co_u32_e32 v4, vcc, v4, v17, vcc
	v_add_co_u32_e32 v3, vcc, v3, v41
	v_addc_co_u32_e32 v4, vcc, 0, v4, vcc
	v_mov_b32_e32 v62, v52
	v_mov_b32_e32 v52, v18
	v_mov_b32_e32 v18, 0
	v_mov_b32_e32 v61, v19
	v_mov_b32_e32 v19, 0
	v_cmp_lt_i32_e32 vcc, v30, v25
	s_mul_hi_i32 s19, s6, s8
	s_mul_i32 s18, s6, s8
	s_lshl_b64 s[18:19], s[18:19], 2
	s_waitcnt vmcnt(0)
	ds_write_b128 v32, v[63:66]
	global_load_dwordx4 v[63:66], v[3:4], off
	s_waitcnt vmcnt(0)
	ds_write_b128 v33, v[63:66]
	s_waitcnt lgkmcnt(0)
	s_barrier
	ds_read_b128 v[63:66], v34
	ds_read_b128 v[67:70], v34 offset:4608
	ds_read_b128 v[71:74], v34 offset:9216
	ds_read_b128 v[75:78], v34 offset:13824
	ds_read_b128 v[79:82], v23
	ds_read_b128 v[83:86], v23 offset:1152
	s_waitcnt lgkmcnt(1)
	;;#ASMSTART
	v_dot2_f32_f16 v18, v63, v79, v18
	;;#ASMEND
	;;#ASMSTART
	v_dot2_f32_f16 v18, v64, v80, v18
	;;#ASMEND
	;; [unrolled: 3-line block ×4, first 2 shown]
	s_waitcnt lgkmcnt(0)
	;;#ASMSTART
	v_dot2_f32_f16 v19, v63, v83, v19
	;;#ASMEND
	;;#ASMSTART
	v_dot2_f32_f16 v19, v64, v84, v19
	;;#ASMEND
	;;#ASMSTART
	v_dot2_f32_f16 v19, v65, v85, v19
	;;#ASMEND
	v_mov_b32_e32 v64, 0
	;;#ASMSTART
	v_dot2_f32_f16 v19, v66, v86, v19
	;;#ASMEND
	;;#ASMSTART
	v_dot2_f32_f16 v64, v67, v79, v64
	;;#ASMEND
	;;#ASMSTART
	v_dot2_f32_f16 v64, v68, v80, v64
	;;#ASMEND
	;;#ASMSTART
	v_dot2_f32_f16 v64, v69, v81, v64
	;;#ASMEND
	v_mov_b32_e32 v63, 0
	;;#ASMSTART
	v_dot2_f32_f16 v64, v70, v82, v64
	;;#ASMEND
	;; [unrolled: 13-line block ×6, first 2 shown]
	;;#ASMSTART
	v_dot2_f32_f16 v67, v75, v83, v67
	;;#ASMEND
	;;#ASMSTART
	v_dot2_f32_f16 v67, v76, v84, v67
	;;#ASMEND
	;; [unrolled: 3-line block ×4, first 2 shown]
	ds_read_b128 v[69:72], v34 offset:16
	ds_read_b128 v[73:76], v34 offset:4624
	;; [unrolled: 1-line block ×6, first 2 shown]
	s_waitcnt lgkmcnt(1)
	;;#ASMSTART
	v_dot2_f32_f16 v18, v69, v85, v18
	;;#ASMEND
	;;#ASMSTART
	v_dot2_f32_f16 v18, v70, v86, v18
	;;#ASMEND
	;; [unrolled: 3-line block ×4, first 2 shown]
	s_waitcnt lgkmcnt(0)
	;;#ASMSTART
	v_dot2_f32_f16 v19, v69, v89, v19
	;;#ASMEND
	;;#ASMSTART
	v_dot2_f32_f16 v19, v70, v90, v19
	;;#ASMEND
	;; [unrolled: 3-line block ×28, first 2 shown]
	ds_read_b128 v[69:72], v34 offset:32
	ds_read_b128 v[73:76], v34 offset:4640
	;; [unrolled: 1-line block ×6, first 2 shown]
	s_waitcnt lgkmcnt(1)
	;;#ASMSTART
	v_dot2_f32_f16 v18, v69, v85, v18
	;;#ASMEND
	;;#ASMSTART
	v_dot2_f32_f16 v18, v70, v86, v18
	;;#ASMEND
	;; [unrolled: 3-line block ×4, first 2 shown]
	s_waitcnt lgkmcnt(0)
	;;#ASMSTART
	v_dot2_f32_f16 v19, v69, v89, v19
	;;#ASMEND
	;;#ASMSTART
	v_dot2_f32_f16 v19, v70, v90, v19
	;;#ASMEND
	;; [unrolled: 3-line block ×28, first 2 shown]
	ds_read_b128 v[69:72], v34 offset:48
	ds_read_b128 v[73:76], v34 offset:4656
	;; [unrolled: 1-line block ×6, first 2 shown]
	s_waitcnt lgkmcnt(1)
	;;#ASMSTART
	v_dot2_f32_f16 v18, v69, v85, v18
	;;#ASMEND
	;;#ASMSTART
	v_dot2_f32_f16 v18, v70, v86, v18
	;;#ASMEND
	;; [unrolled: 3-line block ×4, first 2 shown]
	s_waitcnt lgkmcnt(0)
	;;#ASMSTART
	v_dot2_f32_f16 v19, v69, v89, v19
	;;#ASMEND
	;;#ASMSTART
	v_dot2_f32_f16 v19, v70, v90, v19
	;;#ASMEND
	;; [unrolled: 3-line block ×28, first 2 shown]
	ds_read_b128 v[69:72], v34 offset:64
	ds_read_b128 v[73:76], v34 offset:4672
	;; [unrolled: 1-line block ×6, first 2 shown]
	s_waitcnt lgkmcnt(1)
	;;#ASMSTART
	v_dot2_f32_f16 v18, v69, v85, v18
	;;#ASMEND
	;;#ASMSTART
	v_dot2_f32_f16 v18, v70, v86, v18
	;;#ASMEND
	;; [unrolled: 3-line block ×4, first 2 shown]
	s_waitcnt lgkmcnt(0)
	;;#ASMSTART
	v_dot2_f32_f16 v19, v69, v89, v19
	;;#ASMEND
	;;#ASMSTART
	v_dot2_f32_f16 v19, v70, v90, v19
	;;#ASMEND
	;; [unrolled: 3-line block ×28, first 2 shown]
	ds_read_b128 v[69:72], v34 offset:80
	ds_read_b128 v[73:76], v34 offset:4688
	;; [unrolled: 1-line block ×6, first 2 shown]
	s_waitcnt lgkmcnt(1)
	;;#ASMSTART
	v_dot2_f32_f16 v18, v69, v85, v18
	;;#ASMEND
	;;#ASMSTART
	v_dot2_f32_f16 v18, v70, v86, v18
	;;#ASMEND
	;; [unrolled: 3-line block ×4, first 2 shown]
	s_waitcnt lgkmcnt(0)
	;;#ASMSTART
	v_dot2_f32_f16 v19, v69, v89, v19
	;;#ASMEND
	;;#ASMSTART
	v_dot2_f32_f16 v19, v70, v90, v19
	;;#ASMEND
	;; [unrolled: 3-line block ×28, first 2 shown]
	ds_read_b128 v[69:72], v34 offset:96
	ds_read_b128 v[73:76], v34 offset:4704
	;; [unrolled: 1-line block ×6, first 2 shown]
	s_waitcnt lgkmcnt(1)
	;;#ASMSTART
	v_dot2_f32_f16 v18, v69, v85, v18
	;;#ASMEND
	;;#ASMSTART
	v_dot2_f32_f16 v18, v70, v86, v18
	;;#ASMEND
	;; [unrolled: 3-line block ×4, first 2 shown]
	s_waitcnt lgkmcnt(0)
	;;#ASMSTART
	v_dot2_f32_f16 v19, v69, v89, v19
	;;#ASMEND
	;;#ASMSTART
	v_dot2_f32_f16 v19, v70, v90, v19
	;;#ASMEND
	;; [unrolled: 3-line block ×28, first 2 shown]
	ds_read_b128 v[69:72], v34 offset:112
	ds_read_b128 v[73:76], v34 offset:4720
	ds_read_b128 v[77:80], v34 offset:9328
	ds_read_b128 v[81:84], v34 offset:13936
	ds_read_b128 v[85:88], v23 offset:112
	ds_read_b128 v[89:92], v23 offset:1264
	s_waitcnt lgkmcnt(1)
	;;#ASMSTART
	v_dot2_f32_f16 v18, v69, v85, v18
	;;#ASMEND
	;;#ASMSTART
	v_dot2_f32_f16 v18, v70, v86, v18
	;;#ASMEND
	;; [unrolled: 3-line block ×4, first 2 shown]
	s_waitcnt lgkmcnt(0)
	;;#ASMSTART
	v_dot2_f32_f16 v19, v69, v89, v19
	;;#ASMEND
	;;#ASMSTART
	v_dot2_f32_f16 v19, v70, v90, v19
	;;#ASMEND
	;; [unrolled: 3-line block ×28, first 2 shown]
	s_barrier
	global_load_dwordx4 v[69:72], v[1:2], off offset:128
	s_waitcnt vmcnt(0)
	ds_write_b128 v32, v[69:72]
	global_load_dwordx4 v[69:72], v[3:4], off offset:128
	s_waitcnt vmcnt(0)
	ds_write_b128 v33, v[69:72]
	s_waitcnt lgkmcnt(0)
	s_barrier
	ds_read_b128 v[69:72], v34
	ds_read_b128 v[73:76], v34 offset:4608
	ds_read_b128 v[77:80], v34 offset:9216
	;; [unrolled: 1-line block ×5, first 2 shown]
	s_waitcnt lgkmcnt(1)
	;;#ASMSTART
	v_dot2_f32_f16 v18, v69, v85, v18
	;;#ASMEND
	;;#ASMSTART
	v_dot2_f32_f16 v18, v70, v86, v18
	;;#ASMEND
	;; [unrolled: 3-line block ×4, first 2 shown]
	s_waitcnt lgkmcnt(0)
	;;#ASMSTART
	v_dot2_f32_f16 v19, v69, v89, v19
	;;#ASMEND
	;;#ASMSTART
	v_dot2_f32_f16 v19, v70, v90, v19
	;;#ASMEND
	;; [unrolled: 3-line block ×28, first 2 shown]
	ds_read_b128 v[69:72], v34 offset:16
	ds_read_b128 v[73:76], v34 offset:4624
	;; [unrolled: 1-line block ×6, first 2 shown]
	s_waitcnt lgkmcnt(1)
	;;#ASMSTART
	v_dot2_f32_f16 v18, v69, v85, v18
	;;#ASMEND
	;;#ASMSTART
	v_dot2_f32_f16 v18, v70, v86, v18
	;;#ASMEND
	;;#ASMSTART
	v_dot2_f32_f16 v18, v71, v87, v18
	;;#ASMEND
	;;#ASMSTART
	v_dot2_f32_f16 v18, v72, v88, v18
	;;#ASMEND
	s_waitcnt lgkmcnt(0)
	;;#ASMSTART
	v_dot2_f32_f16 v19, v69, v89, v19
	;;#ASMEND
	;;#ASMSTART
	v_dot2_f32_f16 v19, v70, v90, v19
	;;#ASMEND
	;; [unrolled: 3-line block ×28, first 2 shown]
	ds_read_b128 v[69:72], v34 offset:32
	ds_read_b128 v[73:76], v34 offset:4640
	;; [unrolled: 1-line block ×6, first 2 shown]
	s_waitcnt lgkmcnt(1)
	;;#ASMSTART
	v_dot2_f32_f16 v18, v69, v85, v18
	;;#ASMEND
	;;#ASMSTART
	v_dot2_f32_f16 v18, v70, v86, v18
	;;#ASMEND
	;; [unrolled: 3-line block ×4, first 2 shown]
	s_waitcnt lgkmcnt(0)
	;;#ASMSTART
	v_dot2_f32_f16 v19, v69, v89, v19
	;;#ASMEND
	;;#ASMSTART
	v_dot2_f32_f16 v19, v70, v90, v19
	;;#ASMEND
	;; [unrolled: 3-line block ×28, first 2 shown]
	ds_read_b128 v[69:72], v34 offset:48
	ds_read_b128 v[73:76], v34 offset:4656
	;; [unrolled: 1-line block ×6, first 2 shown]
	s_waitcnt lgkmcnt(1)
	;;#ASMSTART
	v_dot2_f32_f16 v18, v69, v85, v18
	;;#ASMEND
	;;#ASMSTART
	v_dot2_f32_f16 v18, v70, v86, v18
	;;#ASMEND
	;; [unrolled: 3-line block ×4, first 2 shown]
	s_waitcnt lgkmcnt(0)
	;;#ASMSTART
	v_dot2_f32_f16 v19, v69, v89, v19
	;;#ASMEND
	;;#ASMSTART
	v_dot2_f32_f16 v19, v70, v90, v19
	;;#ASMEND
	;; [unrolled: 3-line block ×28, first 2 shown]
	ds_read_b128 v[69:72], v34 offset:64
	ds_read_b128 v[73:76], v34 offset:4672
	;; [unrolled: 1-line block ×6, first 2 shown]
	s_waitcnt lgkmcnt(1)
	;;#ASMSTART
	v_dot2_f32_f16 v18, v69, v85, v18
	;;#ASMEND
	;;#ASMSTART
	v_dot2_f32_f16 v18, v70, v86, v18
	;;#ASMEND
	;; [unrolled: 3-line block ×4, first 2 shown]
	s_waitcnt lgkmcnt(0)
	;;#ASMSTART
	v_dot2_f32_f16 v19, v69, v89, v19
	;;#ASMEND
	;;#ASMSTART
	v_dot2_f32_f16 v19, v70, v90, v19
	;;#ASMEND
	;; [unrolled: 3-line block ×28, first 2 shown]
	ds_read_b128 v[69:72], v34 offset:80
	ds_read_b128 v[73:76], v34 offset:4688
	;; [unrolled: 1-line block ×6, first 2 shown]
	s_waitcnt lgkmcnt(1)
	;;#ASMSTART
	v_dot2_f32_f16 v18, v69, v85, v18
	;;#ASMEND
	;;#ASMSTART
	v_dot2_f32_f16 v18, v70, v86, v18
	;;#ASMEND
	;; [unrolled: 3-line block ×4, first 2 shown]
	s_waitcnt lgkmcnt(0)
	;;#ASMSTART
	v_dot2_f32_f16 v19, v69, v89, v19
	;;#ASMEND
	;;#ASMSTART
	v_dot2_f32_f16 v19, v70, v90, v19
	;;#ASMEND
	;; [unrolled: 3-line block ×28, first 2 shown]
	ds_read_b128 v[69:72], v34 offset:96
	ds_read_b128 v[73:76], v34 offset:4704
	;; [unrolled: 1-line block ×6, first 2 shown]
	s_waitcnt lgkmcnt(1)
	;;#ASMSTART
	v_dot2_f32_f16 v18, v69, v85, v18
	;;#ASMEND
	;;#ASMSTART
	v_dot2_f32_f16 v18, v70, v86, v18
	;;#ASMEND
	;; [unrolled: 3-line block ×4, first 2 shown]
	s_waitcnt lgkmcnt(0)
	;;#ASMSTART
	v_dot2_f32_f16 v19, v69, v89, v19
	;;#ASMEND
	;;#ASMSTART
	v_dot2_f32_f16 v19, v70, v90, v19
	;;#ASMEND
	;; [unrolled: 3-line block ×28, first 2 shown]
	ds_read_b128 v[69:72], v34 offset:112
	ds_read_b128 v[73:76], v34 offset:4720
	;; [unrolled: 1-line block ×6, first 2 shown]
	s_waitcnt lgkmcnt(1)
	;;#ASMSTART
	v_dot2_f32_f16 v18, v69, v85, v18
	;;#ASMEND
	;;#ASMSTART
	v_dot2_f32_f16 v18, v70, v86, v18
	;;#ASMEND
	;; [unrolled: 3-line block ×4, first 2 shown]
	s_waitcnt lgkmcnt(0)
	;;#ASMSTART
	v_dot2_f32_f16 v19, v69, v89, v19
	;;#ASMEND
	;;#ASMSTART
	v_dot2_f32_f16 v19, v70, v90, v19
	;;#ASMEND
	;; [unrolled: 3-line block ×28, first 2 shown]
	s_barrier
	global_load_dwordx4 v[69:72], v[1:2], off offset:256
	s_waitcnt vmcnt(0)
	ds_write_b128 v32, v[69:72]
	global_load_dwordx4 v[69:72], v[3:4], off offset:256
	s_waitcnt vmcnt(0)
	ds_write_b128 v33, v[69:72]
	s_waitcnt lgkmcnt(0)
	s_barrier
	ds_read_b128 v[69:72], v34
	ds_read_b128 v[73:76], v34 offset:4608
	ds_read_b128 v[77:80], v34 offset:9216
	ds_read_b128 v[81:84], v34 offset:13824
	ds_read_b128 v[85:88], v23 offset:256
	ds_read_b128 v[89:92], v23 offset:1408
	s_waitcnt lgkmcnt(1)
	;;#ASMSTART
	v_dot2_f32_f16 v18, v69, v85, v18
	;;#ASMEND
	;;#ASMSTART
	v_dot2_f32_f16 v18, v70, v86, v18
	;;#ASMEND
	;; [unrolled: 3-line block ×4, first 2 shown]
	s_waitcnt lgkmcnt(0)
	;;#ASMSTART
	v_dot2_f32_f16 v19, v69, v89, v19
	;;#ASMEND
	;;#ASMSTART
	v_dot2_f32_f16 v19, v70, v90, v19
	;;#ASMEND
	;; [unrolled: 3-line block ×28, first 2 shown]
	ds_read_b128 v[69:72], v34 offset:16
	ds_read_b128 v[73:76], v34 offset:4624
	;; [unrolled: 1-line block ×6, first 2 shown]
	s_waitcnt lgkmcnt(1)
	;;#ASMSTART
	v_dot2_f32_f16 v18, v69, v85, v18
	;;#ASMEND
	;;#ASMSTART
	v_dot2_f32_f16 v18, v70, v86, v18
	;;#ASMEND
	;; [unrolled: 3-line block ×4, first 2 shown]
	s_waitcnt lgkmcnt(0)
	;;#ASMSTART
	v_dot2_f32_f16 v19, v69, v89, v19
	;;#ASMEND
	;;#ASMSTART
	v_dot2_f32_f16 v19, v70, v90, v19
	;;#ASMEND
	;; [unrolled: 3-line block ×28, first 2 shown]
	ds_read_b128 v[69:72], v34 offset:32
	ds_read_b128 v[73:76], v34 offset:4640
	;; [unrolled: 1-line block ×6, first 2 shown]
	s_waitcnt lgkmcnt(1)
	;;#ASMSTART
	v_dot2_f32_f16 v18, v69, v85, v18
	;;#ASMEND
	;;#ASMSTART
	v_dot2_f32_f16 v18, v70, v86, v18
	;;#ASMEND
	;;#ASMSTART
	v_dot2_f32_f16 v18, v71, v87, v18
	;;#ASMEND
	;;#ASMSTART
	v_dot2_f32_f16 v18, v72, v88, v18
	;;#ASMEND
	s_waitcnt lgkmcnt(0)
	;;#ASMSTART
	v_dot2_f32_f16 v19, v69, v89, v19
	;;#ASMEND
	;;#ASMSTART
	v_dot2_f32_f16 v19, v70, v90, v19
	;;#ASMEND
	;; [unrolled: 3-line block ×28, first 2 shown]
	ds_read_b128 v[69:72], v34 offset:48
	ds_read_b128 v[73:76], v34 offset:4656
	;; [unrolled: 1-line block ×6, first 2 shown]
	s_waitcnt lgkmcnt(1)
	;;#ASMSTART
	v_dot2_f32_f16 v18, v69, v85, v18
	;;#ASMEND
	;;#ASMSTART
	v_dot2_f32_f16 v18, v70, v86, v18
	;;#ASMEND
	;;#ASMSTART
	v_dot2_f32_f16 v18, v71, v87, v18
	;;#ASMEND
	;;#ASMSTART
	v_dot2_f32_f16 v18, v72, v88, v18
	;;#ASMEND
	s_waitcnt lgkmcnt(0)
	;;#ASMSTART
	v_dot2_f32_f16 v19, v69, v89, v19
	;;#ASMEND
	;;#ASMSTART
	v_dot2_f32_f16 v19, v70, v90, v19
	;;#ASMEND
	;;#ASMSTART
	v_dot2_f32_f16 v19, v71, v91, v19
	;;#ASMEND
	;;#ASMSTART
	v_dot2_f32_f16 v19, v72, v92, v19
	;;#ASMEND
	;;#ASMSTART
	v_dot2_f32_f16 v64, v73, v85, v64
	;;#ASMEND
	;;#ASMSTART
	v_dot2_f32_f16 v64, v74, v86, v64
	;;#ASMEND
	;;#ASMSTART
	v_dot2_f32_f16 v64, v75, v87, v64
	;;#ASMEND
	;;#ASMSTART
	v_dot2_f32_f16 v64, v76, v88, v64
	;;#ASMEND
	;;#ASMSTART
	v_dot2_f32_f16 v63, v73, v89, v63
	;;#ASMEND
	;;#ASMSTART
	v_dot2_f32_f16 v63, v74, v90, v63
	;;#ASMEND
	;;#ASMSTART
	v_dot2_f32_f16 v63, v75, v91, v63
	;;#ASMEND
	;;#ASMSTART
	v_dot2_f32_f16 v63, v76, v92, v63
	;;#ASMEND
	;;#ASMSTART
	v_dot2_f32_f16 v66, v77, v85, v66
	;;#ASMEND
	;;#ASMSTART
	v_dot2_f32_f16 v66, v78, v86, v66
	;;#ASMEND
	;;#ASMSTART
	v_dot2_f32_f16 v66, v79, v87, v66
	;;#ASMEND
	;;#ASMSTART
	v_dot2_f32_f16 v66, v80, v88, v66
	;;#ASMEND
	;;#ASMSTART
	v_dot2_f32_f16 v65, v77, v89, v65
	;;#ASMEND
	;;#ASMSTART
	v_dot2_f32_f16 v65, v78, v90, v65
	;;#ASMEND
	;;#ASMSTART
	v_dot2_f32_f16 v65, v79, v91, v65
	;;#ASMEND
	;;#ASMSTART
	v_dot2_f32_f16 v65, v80, v92, v65
	;;#ASMEND
	;;#ASMSTART
	v_dot2_f32_f16 v68, v81, v85, v68
	;;#ASMEND
	;;#ASMSTART
	v_dot2_f32_f16 v68, v82, v86, v68
	;;#ASMEND
	;;#ASMSTART
	v_dot2_f32_f16 v68, v83, v87, v68
	;;#ASMEND
	;;#ASMSTART
	v_dot2_f32_f16 v68, v84, v88, v68
	;;#ASMEND
	;;#ASMSTART
	v_dot2_f32_f16 v67, v81, v89, v67
	;;#ASMEND
	;;#ASMSTART
	v_dot2_f32_f16 v67, v82, v90, v67
	;;#ASMEND
	;;#ASMSTART
	v_dot2_f32_f16 v67, v83, v91, v67
	;;#ASMEND
	;;#ASMSTART
	v_dot2_f32_f16 v67, v84, v92, v67
	;;#ASMEND
	ds_read_b128 v[69:72], v34 offset:64
	ds_read_b128 v[73:76], v34 offset:4672
	;; [unrolled: 1-line block ×6, first 2 shown]
	s_waitcnt lgkmcnt(1)
	;;#ASMSTART
	v_dot2_f32_f16 v18, v69, v85, v18
	;;#ASMEND
	;;#ASMSTART
	v_dot2_f32_f16 v18, v70, v86, v18
	;;#ASMEND
	;; [unrolled: 3-line block ×4, first 2 shown]
	s_waitcnt lgkmcnt(0)
	;;#ASMSTART
	v_dot2_f32_f16 v19, v69, v89, v19
	;;#ASMEND
	;;#ASMSTART
	v_dot2_f32_f16 v19, v70, v90, v19
	;;#ASMEND
	;; [unrolled: 3-line block ×28, first 2 shown]
	ds_read_b128 v[69:72], v34 offset:80
	ds_read_b128 v[73:76], v34 offset:4688
	;; [unrolled: 1-line block ×6, first 2 shown]
	s_waitcnt lgkmcnt(1)
	;;#ASMSTART
	v_dot2_f32_f16 v18, v69, v85, v18
	;;#ASMEND
	;;#ASMSTART
	v_dot2_f32_f16 v18, v70, v86, v18
	;;#ASMEND
	;; [unrolled: 3-line block ×4, first 2 shown]
	s_waitcnt lgkmcnt(0)
	;;#ASMSTART
	v_dot2_f32_f16 v19, v69, v89, v19
	;;#ASMEND
	;;#ASMSTART
	v_dot2_f32_f16 v19, v70, v90, v19
	;;#ASMEND
	;; [unrolled: 3-line block ×28, first 2 shown]
	ds_read_b128 v[69:72], v34 offset:96
	ds_read_b128 v[73:76], v34 offset:4704
	;; [unrolled: 1-line block ×6, first 2 shown]
	s_waitcnt lgkmcnt(1)
	;;#ASMSTART
	v_dot2_f32_f16 v18, v69, v85, v18
	;;#ASMEND
	;;#ASMSTART
	v_dot2_f32_f16 v18, v70, v86, v18
	;;#ASMEND
	;; [unrolled: 3-line block ×4, first 2 shown]
	s_waitcnt lgkmcnt(0)
	;;#ASMSTART
	v_dot2_f32_f16 v19, v69, v89, v19
	;;#ASMEND
	;;#ASMSTART
	v_dot2_f32_f16 v19, v70, v90, v19
	;;#ASMEND
	;; [unrolled: 3-line block ×28, first 2 shown]
	ds_read_b128 v[69:72], v34 offset:112
	ds_read_b128 v[73:76], v34 offset:4720
	;; [unrolled: 1-line block ×6, first 2 shown]
	s_waitcnt lgkmcnt(1)
	;;#ASMSTART
	v_dot2_f32_f16 v18, v69, v85, v18
	;;#ASMEND
	;;#ASMSTART
	v_dot2_f32_f16 v18, v70, v86, v18
	;;#ASMEND
	;; [unrolled: 3-line block ×4, first 2 shown]
	s_waitcnt lgkmcnt(0)
	;;#ASMSTART
	v_dot2_f32_f16 v19, v69, v89, v19
	;;#ASMEND
	;;#ASMSTART
	v_dot2_f32_f16 v19, v70, v90, v19
	;;#ASMEND
	;; [unrolled: 3-line block ×28, first 2 shown]
	s_barrier
	global_load_dwordx4 v[69:72], v[1:2], off offset:384
	s_waitcnt vmcnt(0)
	ds_write_b128 v32, v[69:72]
	global_load_dwordx4 v[69:72], v[3:4], off offset:384
	s_waitcnt vmcnt(0)
	ds_write_b128 v33, v[69:72]
	s_waitcnt lgkmcnt(0)
	s_barrier
	ds_read_b128 v[69:72], v34
	ds_read_b128 v[73:76], v34 offset:4608
	ds_read_b128 v[77:80], v34 offset:9216
	;; [unrolled: 1-line block ×5, first 2 shown]
	s_waitcnt lgkmcnt(1)
	;;#ASMSTART
	v_dot2_f32_f16 v18, v69, v85, v18
	;;#ASMEND
	;;#ASMSTART
	v_dot2_f32_f16 v18, v70, v86, v18
	;;#ASMEND
	;; [unrolled: 3-line block ×4, first 2 shown]
	s_waitcnt lgkmcnt(0)
	;;#ASMSTART
	v_dot2_f32_f16 v19, v69, v89, v19
	;;#ASMEND
	;;#ASMSTART
	v_dot2_f32_f16 v19, v70, v90, v19
	;;#ASMEND
	;; [unrolled: 3-line block ×28, first 2 shown]
	ds_read_b128 v[69:72], v34 offset:16
	ds_read_b128 v[73:76], v34 offset:4624
	;; [unrolled: 1-line block ×6, first 2 shown]
	s_waitcnt lgkmcnt(1)
	;;#ASMSTART
	v_dot2_f32_f16 v18, v69, v85, v18
	;;#ASMEND
	;;#ASMSTART
	v_dot2_f32_f16 v18, v70, v86, v18
	;;#ASMEND
	;; [unrolled: 3-line block ×4, first 2 shown]
	s_waitcnt lgkmcnt(0)
	;;#ASMSTART
	v_dot2_f32_f16 v19, v69, v89, v19
	;;#ASMEND
	;;#ASMSTART
	v_dot2_f32_f16 v19, v70, v90, v19
	;;#ASMEND
	;; [unrolled: 3-line block ×28, first 2 shown]
	ds_read_b128 v[69:72], v34 offset:32
	ds_read_b128 v[73:76], v34 offset:4640
	;; [unrolled: 1-line block ×6, first 2 shown]
	s_waitcnt lgkmcnt(1)
	;;#ASMSTART
	v_dot2_f32_f16 v18, v69, v85, v18
	;;#ASMEND
	;;#ASMSTART
	v_dot2_f32_f16 v18, v70, v86, v18
	;;#ASMEND
	;; [unrolled: 3-line block ×4, first 2 shown]
	s_waitcnt lgkmcnt(0)
	;;#ASMSTART
	v_dot2_f32_f16 v19, v69, v89, v19
	;;#ASMEND
	;;#ASMSTART
	v_dot2_f32_f16 v19, v70, v90, v19
	;;#ASMEND
	;; [unrolled: 3-line block ×28, first 2 shown]
	ds_read_b128 v[69:72], v34 offset:48
	ds_read_b128 v[73:76], v34 offset:4656
	;; [unrolled: 1-line block ×6, first 2 shown]
	s_waitcnt lgkmcnt(1)
	;;#ASMSTART
	v_dot2_f32_f16 v18, v69, v85, v18
	;;#ASMEND
	;;#ASMSTART
	v_dot2_f32_f16 v18, v70, v86, v18
	;;#ASMEND
	;; [unrolled: 3-line block ×4, first 2 shown]
	s_waitcnt lgkmcnt(0)
	;;#ASMSTART
	v_dot2_f32_f16 v19, v69, v89, v19
	;;#ASMEND
	;;#ASMSTART
	v_dot2_f32_f16 v19, v70, v90, v19
	;;#ASMEND
	;; [unrolled: 3-line block ×28, first 2 shown]
	ds_read_b128 v[69:72], v34 offset:64
	ds_read_b128 v[73:76], v34 offset:4672
	;; [unrolled: 1-line block ×6, first 2 shown]
	s_waitcnt lgkmcnt(1)
	;;#ASMSTART
	v_dot2_f32_f16 v18, v69, v85, v18
	;;#ASMEND
	;;#ASMSTART
	v_dot2_f32_f16 v18, v70, v86, v18
	;;#ASMEND
	;; [unrolled: 3-line block ×4, first 2 shown]
	s_waitcnt lgkmcnt(0)
	;;#ASMSTART
	v_dot2_f32_f16 v19, v69, v89, v19
	;;#ASMEND
	;;#ASMSTART
	v_dot2_f32_f16 v19, v70, v90, v19
	;;#ASMEND
	;; [unrolled: 3-line block ×28, first 2 shown]
	ds_read_b128 v[69:72], v34 offset:80
	ds_read_b128 v[73:76], v34 offset:4688
	;; [unrolled: 1-line block ×6, first 2 shown]
	s_waitcnt lgkmcnt(1)
	;;#ASMSTART
	v_dot2_f32_f16 v18, v69, v85, v18
	;;#ASMEND
	;;#ASMSTART
	v_dot2_f32_f16 v18, v70, v86, v18
	;;#ASMEND
	;; [unrolled: 3-line block ×4, first 2 shown]
	s_waitcnt lgkmcnt(0)
	;;#ASMSTART
	v_dot2_f32_f16 v19, v69, v89, v19
	;;#ASMEND
	;;#ASMSTART
	v_dot2_f32_f16 v19, v70, v90, v19
	;;#ASMEND
	;; [unrolled: 3-line block ×28, first 2 shown]
	ds_read_b128 v[69:72], v34 offset:96
	ds_read_b128 v[73:76], v34 offset:4704
	ds_read_b128 v[77:80], v34 offset:9312
	ds_read_b128 v[81:84], v34 offset:13920
	ds_read_b128 v[85:88], v23 offset:480
	ds_read_b128 v[89:92], v23 offset:1632
	s_waitcnt lgkmcnt(1)
	;;#ASMSTART
	v_dot2_f32_f16 v18, v69, v85, v18
	;;#ASMEND
	;;#ASMSTART
	v_dot2_f32_f16 v18, v70, v86, v18
	;;#ASMEND
	;; [unrolled: 3-line block ×4, first 2 shown]
	s_waitcnt lgkmcnt(0)
	;;#ASMSTART
	v_dot2_f32_f16 v19, v69, v89, v19
	;;#ASMEND
	;;#ASMSTART
	v_dot2_f32_f16 v19, v70, v90, v19
	;;#ASMEND
	;; [unrolled: 3-line block ×28, first 2 shown]
	ds_read_b128 v[69:72], v34 offset:112
	ds_read_b128 v[73:76], v34 offset:4720
	;; [unrolled: 1-line block ×6, first 2 shown]
	s_waitcnt lgkmcnt(1)
	;;#ASMSTART
	v_dot2_f32_f16 v18, v69, v85, v18
	;;#ASMEND
	;;#ASMSTART
	v_dot2_f32_f16 v18, v70, v86, v18
	;;#ASMEND
	;; [unrolled: 3-line block ×4, first 2 shown]
	s_waitcnt lgkmcnt(0)
	;;#ASMSTART
	v_dot2_f32_f16 v19, v69, v89, v19
	;;#ASMEND
	;;#ASMSTART
	v_dot2_f32_f16 v19, v70, v90, v19
	;;#ASMEND
	;; [unrolled: 3-line block ×28, first 2 shown]
	s_barrier
	global_load_dwordx4 v[69:72], v[1:2], off offset:512
	s_waitcnt vmcnt(0)
	ds_write_b128 v32, v[69:72]
	global_load_dwordx4 v[69:72], v[3:4], off offset:512
	s_waitcnt vmcnt(0)
	ds_write_b128 v33, v[69:72]
	s_waitcnt lgkmcnt(0)
	s_barrier
	ds_read_b128 v[69:72], v34
	ds_read_b128 v[73:76], v34 offset:4608
	ds_read_b128 v[77:80], v34 offset:9216
	;; [unrolled: 1-line block ×5, first 2 shown]
	s_waitcnt lgkmcnt(1)
	;;#ASMSTART
	v_dot2_f32_f16 v18, v69, v85, v18
	;;#ASMEND
	;;#ASMSTART
	v_dot2_f32_f16 v18, v70, v86, v18
	;;#ASMEND
	;; [unrolled: 3-line block ×4, first 2 shown]
	s_waitcnt lgkmcnt(0)
	;;#ASMSTART
	v_dot2_f32_f16 v19, v69, v89, v19
	;;#ASMEND
	;;#ASMSTART
	v_dot2_f32_f16 v19, v70, v90, v19
	;;#ASMEND
	;; [unrolled: 3-line block ×28, first 2 shown]
	ds_read_b128 v[69:72], v34 offset:16
	ds_read_b128 v[73:76], v34 offset:4624
	;; [unrolled: 1-line block ×6, first 2 shown]
	s_waitcnt lgkmcnt(1)
	;;#ASMSTART
	v_dot2_f32_f16 v18, v69, v85, v18
	;;#ASMEND
	;;#ASMSTART
	v_dot2_f32_f16 v18, v70, v86, v18
	;;#ASMEND
	;; [unrolled: 3-line block ×4, first 2 shown]
	s_waitcnt lgkmcnt(0)
	;;#ASMSTART
	v_dot2_f32_f16 v19, v69, v89, v19
	;;#ASMEND
	;;#ASMSTART
	v_dot2_f32_f16 v19, v70, v90, v19
	;;#ASMEND
	;; [unrolled: 3-line block ×28, first 2 shown]
	ds_read_b128 v[69:72], v34 offset:32
	ds_read_b128 v[73:76], v34 offset:4640
	;; [unrolled: 1-line block ×6, first 2 shown]
	s_waitcnt lgkmcnt(1)
	;;#ASMSTART
	v_dot2_f32_f16 v18, v69, v85, v18
	;;#ASMEND
	;;#ASMSTART
	v_dot2_f32_f16 v18, v70, v86, v18
	;;#ASMEND
	;; [unrolled: 3-line block ×4, first 2 shown]
	s_waitcnt lgkmcnt(0)
	;;#ASMSTART
	v_dot2_f32_f16 v19, v69, v89, v19
	;;#ASMEND
	;;#ASMSTART
	v_dot2_f32_f16 v19, v70, v90, v19
	;;#ASMEND
	;; [unrolled: 3-line block ×28, first 2 shown]
	ds_read_b128 v[69:72], v34 offset:48
	ds_read_b128 v[73:76], v34 offset:4656
	;; [unrolled: 1-line block ×6, first 2 shown]
	s_waitcnt lgkmcnt(1)
	;;#ASMSTART
	v_dot2_f32_f16 v18, v69, v85, v18
	;;#ASMEND
	;;#ASMSTART
	v_dot2_f32_f16 v18, v70, v86, v18
	;;#ASMEND
	;; [unrolled: 3-line block ×4, first 2 shown]
	s_waitcnt lgkmcnt(0)
	;;#ASMSTART
	v_dot2_f32_f16 v19, v69, v89, v19
	;;#ASMEND
	;;#ASMSTART
	v_dot2_f32_f16 v19, v70, v90, v19
	;;#ASMEND
	;; [unrolled: 3-line block ×28, first 2 shown]
	ds_read_b128 v[69:72], v34 offset:64
	ds_read_b128 v[73:76], v34 offset:4672
	;; [unrolled: 1-line block ×6, first 2 shown]
	s_waitcnt lgkmcnt(1)
	;;#ASMSTART
	v_dot2_f32_f16 v18, v69, v85, v18
	;;#ASMEND
	;;#ASMSTART
	v_dot2_f32_f16 v18, v70, v86, v18
	;;#ASMEND
	;; [unrolled: 3-line block ×4, first 2 shown]
	s_waitcnt lgkmcnt(0)
	;;#ASMSTART
	v_dot2_f32_f16 v19, v69, v89, v19
	;;#ASMEND
	;;#ASMSTART
	v_dot2_f32_f16 v19, v70, v90, v19
	;;#ASMEND
	;; [unrolled: 3-line block ×28, first 2 shown]
	ds_read_b128 v[69:72], v34 offset:80
	ds_read_b128 v[73:76], v34 offset:4688
	;; [unrolled: 1-line block ×6, first 2 shown]
	s_waitcnt lgkmcnt(1)
	;;#ASMSTART
	v_dot2_f32_f16 v18, v69, v85, v18
	;;#ASMEND
	;;#ASMSTART
	v_dot2_f32_f16 v18, v70, v86, v18
	;;#ASMEND
	;; [unrolled: 3-line block ×4, first 2 shown]
	s_waitcnt lgkmcnt(0)
	;;#ASMSTART
	v_dot2_f32_f16 v19, v69, v89, v19
	;;#ASMEND
	;;#ASMSTART
	v_dot2_f32_f16 v19, v70, v90, v19
	;;#ASMEND
	;; [unrolled: 3-line block ×28, first 2 shown]
	ds_read_b128 v[69:72], v34 offset:96
	ds_read_b128 v[73:76], v34 offset:4704
	;; [unrolled: 1-line block ×6, first 2 shown]
	s_waitcnt lgkmcnt(1)
	;;#ASMSTART
	v_dot2_f32_f16 v18, v69, v85, v18
	;;#ASMEND
	;;#ASMSTART
	v_dot2_f32_f16 v18, v70, v86, v18
	;;#ASMEND
	;;#ASMSTART
	v_dot2_f32_f16 v18, v71, v87, v18
	;;#ASMEND
	;;#ASMSTART
	v_dot2_f32_f16 v18, v72, v88, v18
	;;#ASMEND
	s_waitcnt lgkmcnt(0)
	;;#ASMSTART
	v_dot2_f32_f16 v19, v69, v89, v19
	;;#ASMEND
	;;#ASMSTART
	v_dot2_f32_f16 v19, v70, v90, v19
	;;#ASMEND
	;; [unrolled: 3-line block ×28, first 2 shown]
	ds_read_b128 v[69:72], v34 offset:112
	ds_read_b128 v[73:76], v34 offset:4720
	;; [unrolled: 1-line block ×6, first 2 shown]
	s_waitcnt lgkmcnt(1)
	;;#ASMSTART
	v_dot2_f32_f16 v18, v69, v85, v18
	;;#ASMEND
	;;#ASMSTART
	v_dot2_f32_f16 v18, v70, v86, v18
	;;#ASMEND
	;; [unrolled: 3-line block ×4, first 2 shown]
	s_waitcnt lgkmcnt(0)
	;;#ASMSTART
	v_dot2_f32_f16 v19, v69, v89, v19
	;;#ASMEND
	;;#ASMSTART
	v_dot2_f32_f16 v19, v70, v90, v19
	;;#ASMEND
	;; [unrolled: 3-line block ×28, first 2 shown]
	s_barrier
	global_load_dwordx4 v[69:72], v[1:2], off offset:640
	s_waitcnt vmcnt(0)
	ds_write_b128 v32, v[69:72]
	global_load_dwordx4 v[69:72], v[3:4], off offset:640
	s_waitcnt vmcnt(0)
	ds_write_b128 v33, v[69:72]
	s_waitcnt lgkmcnt(0)
	s_barrier
	ds_read_b128 v[69:72], v34
	ds_read_b128 v[73:76], v34 offset:4608
	ds_read_b128 v[77:80], v34 offset:9216
	;; [unrolled: 1-line block ×5, first 2 shown]
	s_waitcnt lgkmcnt(1)
	;;#ASMSTART
	v_dot2_f32_f16 v18, v69, v85, v18
	;;#ASMEND
	;;#ASMSTART
	v_dot2_f32_f16 v18, v70, v86, v18
	;;#ASMEND
	;; [unrolled: 3-line block ×4, first 2 shown]
	s_waitcnt lgkmcnt(0)
	;;#ASMSTART
	v_dot2_f32_f16 v19, v69, v89, v19
	;;#ASMEND
	;;#ASMSTART
	v_dot2_f32_f16 v19, v70, v90, v19
	;;#ASMEND
	;; [unrolled: 3-line block ×28, first 2 shown]
	ds_read_b128 v[69:72], v34 offset:16
	ds_read_b128 v[73:76], v34 offset:4624
	;; [unrolled: 1-line block ×6, first 2 shown]
	s_waitcnt lgkmcnt(1)
	;;#ASMSTART
	v_dot2_f32_f16 v18, v69, v85, v18
	;;#ASMEND
	;;#ASMSTART
	v_dot2_f32_f16 v18, v70, v86, v18
	;;#ASMEND
	;; [unrolled: 3-line block ×4, first 2 shown]
	s_waitcnt lgkmcnt(0)
	;;#ASMSTART
	v_dot2_f32_f16 v19, v69, v89, v19
	;;#ASMEND
	;;#ASMSTART
	v_dot2_f32_f16 v19, v70, v90, v19
	;;#ASMEND
	;; [unrolled: 3-line block ×28, first 2 shown]
	ds_read_b128 v[69:72], v34 offset:32
	ds_read_b128 v[73:76], v34 offset:4640
	;; [unrolled: 1-line block ×6, first 2 shown]
	s_waitcnt lgkmcnt(1)
	;;#ASMSTART
	v_dot2_f32_f16 v18, v69, v85, v18
	;;#ASMEND
	;;#ASMSTART
	v_dot2_f32_f16 v18, v70, v86, v18
	;;#ASMEND
	;;#ASMSTART
	v_dot2_f32_f16 v18, v71, v87, v18
	;;#ASMEND
	;;#ASMSTART
	v_dot2_f32_f16 v18, v72, v88, v18
	;;#ASMEND
	s_waitcnt lgkmcnt(0)
	;;#ASMSTART
	v_dot2_f32_f16 v19, v69, v89, v19
	;;#ASMEND
	;;#ASMSTART
	v_dot2_f32_f16 v19, v70, v90, v19
	;;#ASMEND
	;; [unrolled: 3-line block ×28, first 2 shown]
	ds_read_b128 v[69:72], v34 offset:48
	ds_read_b128 v[73:76], v34 offset:4656
	;; [unrolled: 1-line block ×6, first 2 shown]
	s_waitcnt lgkmcnt(1)
	;;#ASMSTART
	v_dot2_f32_f16 v18, v69, v85, v18
	;;#ASMEND
	;;#ASMSTART
	v_dot2_f32_f16 v18, v70, v86, v18
	;;#ASMEND
	;; [unrolled: 3-line block ×4, first 2 shown]
	s_waitcnt lgkmcnt(0)
	;;#ASMSTART
	v_dot2_f32_f16 v19, v69, v89, v19
	;;#ASMEND
	;;#ASMSTART
	v_dot2_f32_f16 v19, v70, v90, v19
	;;#ASMEND
	;; [unrolled: 3-line block ×28, first 2 shown]
	ds_read_b128 v[69:72], v34 offset:64
	ds_read_b128 v[73:76], v34 offset:4672
	;; [unrolled: 1-line block ×6, first 2 shown]
	s_waitcnt lgkmcnt(1)
	;;#ASMSTART
	v_dot2_f32_f16 v18, v69, v85, v18
	;;#ASMEND
	;;#ASMSTART
	v_dot2_f32_f16 v18, v70, v86, v18
	;;#ASMEND
	;; [unrolled: 3-line block ×4, first 2 shown]
	s_waitcnt lgkmcnt(0)
	;;#ASMSTART
	v_dot2_f32_f16 v19, v69, v89, v19
	;;#ASMEND
	;;#ASMSTART
	v_dot2_f32_f16 v19, v70, v90, v19
	;;#ASMEND
	;; [unrolled: 3-line block ×28, first 2 shown]
	ds_read_b128 v[69:72], v34 offset:80
	ds_read_b128 v[73:76], v34 offset:4688
	;; [unrolled: 1-line block ×6, first 2 shown]
	s_waitcnt lgkmcnt(1)
	;;#ASMSTART
	v_dot2_f32_f16 v18, v69, v85, v18
	;;#ASMEND
	;;#ASMSTART
	v_dot2_f32_f16 v18, v70, v86, v18
	;;#ASMEND
	;; [unrolled: 3-line block ×4, first 2 shown]
	s_waitcnt lgkmcnt(0)
	;;#ASMSTART
	v_dot2_f32_f16 v19, v69, v89, v19
	;;#ASMEND
	;;#ASMSTART
	v_dot2_f32_f16 v19, v70, v90, v19
	;;#ASMEND
	;; [unrolled: 3-line block ×28, first 2 shown]
	ds_read_b128 v[69:72], v34 offset:96
	ds_read_b128 v[73:76], v34 offset:4704
	;; [unrolled: 1-line block ×6, first 2 shown]
	s_waitcnt lgkmcnt(1)
	;;#ASMSTART
	v_dot2_f32_f16 v18, v69, v85, v18
	;;#ASMEND
	;;#ASMSTART
	v_dot2_f32_f16 v18, v70, v86, v18
	;;#ASMEND
	;; [unrolled: 3-line block ×4, first 2 shown]
	s_waitcnt lgkmcnt(0)
	;;#ASMSTART
	v_dot2_f32_f16 v19, v69, v89, v19
	;;#ASMEND
	;;#ASMSTART
	v_dot2_f32_f16 v19, v70, v90, v19
	;;#ASMEND
	;; [unrolled: 3-line block ×28, first 2 shown]
	ds_read_b128 v[69:72], v34 offset:112
	ds_read_b128 v[73:76], v34 offset:4720
	;; [unrolled: 1-line block ×6, first 2 shown]
	s_waitcnt lgkmcnt(1)
	;;#ASMSTART
	v_dot2_f32_f16 v18, v69, v85, v18
	;;#ASMEND
	;;#ASMSTART
	v_dot2_f32_f16 v18, v70, v86, v18
	;;#ASMEND
	;; [unrolled: 3-line block ×4, first 2 shown]
	s_waitcnt lgkmcnt(0)
	;;#ASMSTART
	v_dot2_f32_f16 v19, v69, v89, v19
	;;#ASMEND
	;;#ASMSTART
	v_dot2_f32_f16 v19, v70, v90, v19
	;;#ASMEND
	;; [unrolled: 3-line block ×28, first 2 shown]
	s_barrier
	global_load_dwordx4 v[69:72], v[1:2], off offset:768
	s_waitcnt vmcnt(0)
	ds_write_b128 v32, v[69:72]
	global_load_dwordx4 v[69:72], v[3:4], off offset:768
	s_waitcnt vmcnt(0)
	ds_write_b128 v33, v[69:72]
	s_waitcnt lgkmcnt(0)
	s_barrier
	ds_read_b128 v[69:72], v34
	ds_read_b128 v[73:76], v34 offset:4608
	ds_read_b128 v[77:80], v34 offset:9216
	;; [unrolled: 1-line block ×5, first 2 shown]
	s_waitcnt lgkmcnt(1)
	;;#ASMSTART
	v_dot2_f32_f16 v18, v69, v85, v18
	;;#ASMEND
	;;#ASMSTART
	v_dot2_f32_f16 v18, v70, v86, v18
	;;#ASMEND
	;; [unrolled: 3-line block ×4, first 2 shown]
	s_waitcnt lgkmcnt(0)
	;;#ASMSTART
	v_dot2_f32_f16 v19, v69, v89, v19
	;;#ASMEND
	;;#ASMSTART
	v_dot2_f32_f16 v19, v70, v90, v19
	;;#ASMEND
	;; [unrolled: 3-line block ×28, first 2 shown]
	ds_read_b128 v[69:72], v34 offset:16
	ds_read_b128 v[73:76], v34 offset:4624
	;; [unrolled: 1-line block ×6, first 2 shown]
	s_waitcnt lgkmcnt(1)
	;;#ASMSTART
	v_dot2_f32_f16 v18, v69, v85, v18
	;;#ASMEND
	;;#ASMSTART
	v_dot2_f32_f16 v18, v70, v86, v18
	;;#ASMEND
	;;#ASMSTART
	v_dot2_f32_f16 v18, v71, v87, v18
	;;#ASMEND
	;;#ASMSTART
	v_dot2_f32_f16 v18, v72, v88, v18
	;;#ASMEND
	s_waitcnt lgkmcnt(0)
	;;#ASMSTART
	v_dot2_f32_f16 v19, v69, v89, v19
	;;#ASMEND
	;;#ASMSTART
	v_dot2_f32_f16 v19, v70, v90, v19
	;;#ASMEND
	;; [unrolled: 3-line block ×28, first 2 shown]
	ds_read_b128 v[69:72], v34 offset:32
	ds_read_b128 v[73:76], v34 offset:4640
	ds_read_b128 v[77:80], v34 offset:9248
	ds_read_b128 v[81:84], v34 offset:13856
	ds_read_b128 v[85:88], v23 offset:800
	ds_read_b128 v[89:92], v23 offset:1952
	s_waitcnt lgkmcnt(1)
	;;#ASMSTART
	v_dot2_f32_f16 v18, v69, v85, v18
	;;#ASMEND
	;;#ASMSTART
	v_dot2_f32_f16 v18, v70, v86, v18
	;;#ASMEND
	;; [unrolled: 3-line block ×4, first 2 shown]
	s_waitcnt lgkmcnt(0)
	;;#ASMSTART
	v_dot2_f32_f16 v19, v69, v89, v19
	;;#ASMEND
	;;#ASMSTART
	v_dot2_f32_f16 v19, v70, v90, v19
	;;#ASMEND
	;; [unrolled: 3-line block ×28, first 2 shown]
	ds_read_b128 v[69:72], v34 offset:48
	ds_read_b128 v[73:76], v34 offset:4656
	ds_read_b128 v[77:80], v34 offset:9264
	ds_read_b128 v[81:84], v34 offset:13872
	ds_read_b128 v[85:88], v23 offset:816
	ds_read_b128 v[89:92], v23 offset:1968
	s_waitcnt lgkmcnt(1)
	;;#ASMSTART
	v_dot2_f32_f16 v18, v69, v85, v18
	;;#ASMEND
	;;#ASMSTART
	v_dot2_f32_f16 v18, v70, v86, v18
	;;#ASMEND
	;; [unrolled: 3-line block ×4, first 2 shown]
	s_waitcnt lgkmcnt(0)
	;;#ASMSTART
	v_dot2_f32_f16 v19, v69, v89, v19
	;;#ASMEND
	;;#ASMSTART
	v_dot2_f32_f16 v19, v70, v90, v19
	;;#ASMEND
	;; [unrolled: 3-line block ×28, first 2 shown]
	ds_read_b128 v[69:72], v34 offset:64
	ds_read_b128 v[73:76], v34 offset:4672
	;; [unrolled: 1-line block ×6, first 2 shown]
	s_waitcnt lgkmcnt(1)
	;;#ASMSTART
	v_dot2_f32_f16 v18, v69, v85, v18
	;;#ASMEND
	;;#ASMSTART
	v_dot2_f32_f16 v18, v70, v86, v18
	;;#ASMEND
	;; [unrolled: 3-line block ×4, first 2 shown]
	s_waitcnt lgkmcnt(0)
	;;#ASMSTART
	v_dot2_f32_f16 v19, v69, v89, v19
	;;#ASMEND
	;;#ASMSTART
	v_dot2_f32_f16 v19, v70, v90, v19
	;;#ASMEND
	;; [unrolled: 3-line block ×28, first 2 shown]
	ds_read_b128 v[69:72], v34 offset:80
	ds_read_b128 v[73:76], v34 offset:4688
	;; [unrolled: 1-line block ×6, first 2 shown]
	s_waitcnt lgkmcnt(1)
	;;#ASMSTART
	v_dot2_f32_f16 v18, v69, v85, v18
	;;#ASMEND
	;;#ASMSTART
	v_dot2_f32_f16 v18, v70, v86, v18
	;;#ASMEND
	;; [unrolled: 3-line block ×4, first 2 shown]
	s_waitcnt lgkmcnt(0)
	;;#ASMSTART
	v_dot2_f32_f16 v19, v69, v89, v19
	;;#ASMEND
	;;#ASMSTART
	v_dot2_f32_f16 v19, v70, v90, v19
	;;#ASMEND
	;;#ASMSTART
	v_dot2_f32_f16 v19, v71, v91, v19
	;;#ASMEND
	;;#ASMSTART
	v_dot2_f32_f16 v19, v72, v92, v19
	;;#ASMEND
	;;#ASMSTART
	v_dot2_f32_f16 v64, v73, v85, v64
	;;#ASMEND
	;;#ASMSTART
	v_dot2_f32_f16 v64, v74, v86, v64
	;;#ASMEND
	;;#ASMSTART
	v_dot2_f32_f16 v64, v75, v87, v64
	;;#ASMEND
	;;#ASMSTART
	v_dot2_f32_f16 v64, v76, v88, v64
	;;#ASMEND
	;;#ASMSTART
	v_dot2_f32_f16 v63, v73, v89, v63
	;;#ASMEND
	;;#ASMSTART
	v_dot2_f32_f16 v63, v74, v90, v63
	;;#ASMEND
	;;#ASMSTART
	v_dot2_f32_f16 v63, v75, v91, v63
	;;#ASMEND
	;;#ASMSTART
	v_dot2_f32_f16 v63, v76, v92, v63
	;;#ASMEND
	;;#ASMSTART
	v_dot2_f32_f16 v66, v77, v85, v66
	;;#ASMEND
	;;#ASMSTART
	v_dot2_f32_f16 v66, v78, v86, v66
	;;#ASMEND
	;;#ASMSTART
	v_dot2_f32_f16 v66, v79, v87, v66
	;;#ASMEND
	;;#ASMSTART
	v_dot2_f32_f16 v66, v80, v88, v66
	;;#ASMEND
	;;#ASMSTART
	v_dot2_f32_f16 v65, v77, v89, v65
	;;#ASMEND
	;;#ASMSTART
	v_dot2_f32_f16 v65, v78, v90, v65
	;;#ASMEND
	;;#ASMSTART
	v_dot2_f32_f16 v65, v79, v91, v65
	;;#ASMEND
	;;#ASMSTART
	v_dot2_f32_f16 v65, v80, v92, v65
	;;#ASMEND
	;;#ASMSTART
	v_dot2_f32_f16 v68, v81, v85, v68
	;;#ASMEND
	;;#ASMSTART
	v_dot2_f32_f16 v68, v82, v86, v68
	;;#ASMEND
	;;#ASMSTART
	v_dot2_f32_f16 v68, v83, v87, v68
	;;#ASMEND
	;;#ASMSTART
	v_dot2_f32_f16 v68, v84, v88, v68
	;;#ASMEND
	;;#ASMSTART
	v_dot2_f32_f16 v67, v81, v89, v67
	;;#ASMEND
	;;#ASMSTART
	v_dot2_f32_f16 v67, v82, v90, v67
	;;#ASMEND
	;;#ASMSTART
	v_dot2_f32_f16 v67, v83, v91, v67
	;;#ASMEND
	;;#ASMSTART
	v_dot2_f32_f16 v67, v84, v92, v67
	;;#ASMEND
	ds_read_b128 v[69:72], v34 offset:96
	ds_read_b128 v[73:76], v34 offset:4704
	ds_read_b128 v[77:80], v34 offset:9312
	ds_read_b128 v[81:84], v34 offset:13920
	ds_read_b128 v[85:88], v23 offset:864
	ds_read_b128 v[89:92], v23 offset:2016
	s_waitcnt lgkmcnt(1)
	;;#ASMSTART
	v_dot2_f32_f16 v18, v69, v85, v18
	;;#ASMEND
	;;#ASMSTART
	v_dot2_f32_f16 v18, v70, v86, v18
	;;#ASMEND
	;; [unrolled: 3-line block ×4, first 2 shown]
	s_waitcnt lgkmcnt(0)
	;;#ASMSTART
	v_dot2_f32_f16 v19, v69, v89, v19
	;;#ASMEND
	;;#ASMSTART
	v_dot2_f32_f16 v19, v70, v90, v19
	;;#ASMEND
	;; [unrolled: 3-line block ×28, first 2 shown]
	ds_read_b128 v[69:72], v34 offset:112
	ds_read_b128 v[73:76], v34 offset:4720
	;; [unrolled: 1-line block ×6, first 2 shown]
	s_waitcnt lgkmcnt(1)
	;;#ASMSTART
	v_dot2_f32_f16 v18, v69, v85, v18
	;;#ASMEND
	;;#ASMSTART
	v_dot2_f32_f16 v18, v70, v86, v18
	;;#ASMEND
	;; [unrolled: 3-line block ×4, first 2 shown]
	s_waitcnt lgkmcnt(0)
	;;#ASMSTART
	v_dot2_f32_f16 v19, v69, v89, v19
	;;#ASMEND
	;;#ASMSTART
	v_dot2_f32_f16 v19, v70, v90, v19
	;;#ASMEND
	;; [unrolled: 3-line block ×28, first 2 shown]
	s_barrier
	global_load_dwordx4 v[69:72], v[1:2], off offset:896
	s_waitcnt vmcnt(0)
	ds_write_b128 v32, v[69:72]
	global_load_dwordx4 v[69:72], v[3:4], off offset:896
	s_waitcnt vmcnt(0)
	ds_write_b128 v33, v[69:72]
	s_waitcnt lgkmcnt(0)
	s_barrier
	ds_read_b128 v[69:72], v34
	ds_read_b128 v[73:76], v34 offset:4608
	ds_read_b128 v[77:80], v34 offset:9216
	;; [unrolled: 1-line block ×5, first 2 shown]
	s_waitcnt lgkmcnt(1)
	;;#ASMSTART
	v_dot2_f32_f16 v18, v69, v85, v18
	;;#ASMEND
	;;#ASMSTART
	v_dot2_f32_f16 v18, v70, v86, v18
	;;#ASMEND
	;; [unrolled: 3-line block ×4, first 2 shown]
	s_waitcnt lgkmcnt(0)
	;;#ASMSTART
	v_dot2_f32_f16 v19, v69, v89, v19
	;;#ASMEND
	;;#ASMSTART
	v_dot2_f32_f16 v19, v70, v90, v19
	;;#ASMEND
	;; [unrolled: 3-line block ×28, first 2 shown]
	ds_read_b128 v[69:72], v34 offset:16
	ds_read_b128 v[73:76], v34 offset:4624
	;; [unrolled: 1-line block ×6, first 2 shown]
	s_waitcnt lgkmcnt(1)
	;;#ASMSTART
	v_dot2_f32_f16 v18, v69, v85, v18
	;;#ASMEND
	;;#ASMSTART
	v_dot2_f32_f16 v18, v70, v86, v18
	;;#ASMEND
	;;#ASMSTART
	v_dot2_f32_f16 v18, v71, v87, v18
	;;#ASMEND
	;;#ASMSTART
	v_dot2_f32_f16 v18, v72, v88, v18
	;;#ASMEND
	s_waitcnt lgkmcnt(0)
	;;#ASMSTART
	v_dot2_f32_f16 v19, v69, v89, v19
	;;#ASMEND
	;;#ASMSTART
	v_dot2_f32_f16 v19, v70, v90, v19
	;;#ASMEND
	;;#ASMSTART
	v_dot2_f32_f16 v19, v71, v91, v19
	;;#ASMEND
	;;#ASMSTART
	v_dot2_f32_f16 v19, v72, v92, v19
	;;#ASMEND
	;;#ASMSTART
	v_dot2_f32_f16 v64, v73, v85, v64
	;;#ASMEND
	;;#ASMSTART
	v_dot2_f32_f16 v64, v74, v86, v64
	;;#ASMEND
	;;#ASMSTART
	v_dot2_f32_f16 v64, v75, v87, v64
	;;#ASMEND
	;;#ASMSTART
	v_dot2_f32_f16 v64, v76, v88, v64
	;;#ASMEND
	;;#ASMSTART
	v_dot2_f32_f16 v63, v73, v89, v63
	;;#ASMEND
	;;#ASMSTART
	v_dot2_f32_f16 v63, v74, v90, v63
	;;#ASMEND
	;;#ASMSTART
	v_dot2_f32_f16 v63, v75, v91, v63
	;;#ASMEND
	;;#ASMSTART
	v_dot2_f32_f16 v63, v76, v92, v63
	;;#ASMEND
	;;#ASMSTART
	v_dot2_f32_f16 v66, v77, v85, v66
	;;#ASMEND
	;;#ASMSTART
	v_dot2_f32_f16 v66, v78, v86, v66
	;;#ASMEND
	;;#ASMSTART
	v_dot2_f32_f16 v66, v79, v87, v66
	;;#ASMEND
	;;#ASMSTART
	v_dot2_f32_f16 v66, v80, v88, v66
	;;#ASMEND
	;;#ASMSTART
	v_dot2_f32_f16 v65, v77, v89, v65
	;;#ASMEND
	;;#ASMSTART
	v_dot2_f32_f16 v65, v78, v90, v65
	;;#ASMEND
	;;#ASMSTART
	v_dot2_f32_f16 v65, v79, v91, v65
	;;#ASMEND
	;;#ASMSTART
	v_dot2_f32_f16 v65, v80, v92, v65
	;;#ASMEND
	;;#ASMSTART
	v_dot2_f32_f16 v68, v81, v85, v68
	;;#ASMEND
	;;#ASMSTART
	v_dot2_f32_f16 v68, v82, v86, v68
	;;#ASMEND
	;;#ASMSTART
	v_dot2_f32_f16 v68, v83, v87, v68
	;;#ASMEND
	;;#ASMSTART
	v_dot2_f32_f16 v68, v84, v88, v68
	;;#ASMEND
	;;#ASMSTART
	v_dot2_f32_f16 v67, v81, v89, v67
	;;#ASMEND
	;;#ASMSTART
	v_dot2_f32_f16 v67, v82, v90, v67
	;;#ASMEND
	;;#ASMSTART
	v_dot2_f32_f16 v67, v83, v91, v67
	;;#ASMEND
	;;#ASMSTART
	v_dot2_f32_f16 v67, v84, v92, v67
	;;#ASMEND
	ds_read_b128 v[69:72], v34 offset:32
	ds_read_b128 v[73:76], v34 offset:4640
	;; [unrolled: 1-line block ×6, first 2 shown]
	s_waitcnt lgkmcnt(1)
	;;#ASMSTART
	v_dot2_f32_f16 v18, v69, v85, v18
	;;#ASMEND
	;;#ASMSTART
	v_dot2_f32_f16 v18, v70, v86, v18
	;;#ASMEND
	;; [unrolled: 3-line block ×4, first 2 shown]
	s_waitcnt lgkmcnt(0)
	;;#ASMSTART
	v_dot2_f32_f16 v19, v69, v89, v19
	;;#ASMEND
	;;#ASMSTART
	v_dot2_f32_f16 v19, v70, v90, v19
	;;#ASMEND
	;; [unrolled: 3-line block ×28, first 2 shown]
	ds_read_b128 v[69:72], v34 offset:48
	ds_read_b128 v[73:76], v34 offset:4656
	;; [unrolled: 1-line block ×6, first 2 shown]
	s_waitcnt lgkmcnt(1)
	;;#ASMSTART
	v_dot2_f32_f16 v18, v69, v85, v18
	;;#ASMEND
	;;#ASMSTART
	v_dot2_f32_f16 v18, v70, v86, v18
	;;#ASMEND
	;; [unrolled: 3-line block ×4, first 2 shown]
	s_waitcnt lgkmcnt(0)
	;;#ASMSTART
	v_dot2_f32_f16 v19, v69, v89, v19
	;;#ASMEND
	;;#ASMSTART
	v_dot2_f32_f16 v19, v70, v90, v19
	;;#ASMEND
	;; [unrolled: 3-line block ×28, first 2 shown]
	ds_read_b128 v[69:72], v34 offset:64
	ds_read_b128 v[73:76], v34 offset:4672
	;; [unrolled: 1-line block ×6, first 2 shown]
	s_waitcnt lgkmcnt(1)
	;;#ASMSTART
	v_dot2_f32_f16 v18, v69, v85, v18
	;;#ASMEND
	;;#ASMSTART
	v_dot2_f32_f16 v18, v70, v86, v18
	;;#ASMEND
	;; [unrolled: 3-line block ×4, first 2 shown]
	s_waitcnt lgkmcnt(0)
	;;#ASMSTART
	v_dot2_f32_f16 v19, v69, v89, v19
	;;#ASMEND
	;;#ASMSTART
	v_dot2_f32_f16 v19, v70, v90, v19
	;;#ASMEND
	;; [unrolled: 3-line block ×28, first 2 shown]
	ds_read_b128 v[69:72], v34 offset:80
	ds_read_b128 v[73:76], v34 offset:4688
	;; [unrolled: 1-line block ×6, first 2 shown]
	s_waitcnt lgkmcnt(1)
	;;#ASMSTART
	v_dot2_f32_f16 v18, v69, v85, v18
	;;#ASMEND
	;;#ASMSTART
	v_dot2_f32_f16 v18, v70, v86, v18
	;;#ASMEND
	;;#ASMSTART
	v_dot2_f32_f16 v18, v71, v87, v18
	;;#ASMEND
	;;#ASMSTART
	v_dot2_f32_f16 v18, v72, v88, v18
	;;#ASMEND
	s_waitcnt lgkmcnt(0)
	;;#ASMSTART
	v_dot2_f32_f16 v19, v69, v89, v19
	;;#ASMEND
	;;#ASMSTART
	v_dot2_f32_f16 v19, v70, v90, v19
	;;#ASMEND
	;; [unrolled: 3-line block ×28, first 2 shown]
	ds_read_b128 v[69:72], v34 offset:96
	ds_read_b128 v[73:76], v34 offset:4704
	ds_read_b128 v[77:80], v34 offset:9312
	ds_read_b128 v[81:84], v34 offset:13920
	ds_read_b128 v[85:88], v23 offset:992
	ds_read_b128 v[89:92], v23 offset:2144
	s_waitcnt lgkmcnt(1)
	;;#ASMSTART
	v_dot2_f32_f16 v18, v69, v85, v18
	;;#ASMEND
	;;#ASMSTART
	v_dot2_f32_f16 v18, v70, v86, v18
	;;#ASMEND
	;; [unrolled: 3-line block ×4, first 2 shown]
	s_waitcnt lgkmcnt(0)
	;;#ASMSTART
	v_dot2_f32_f16 v19, v69, v89, v19
	;;#ASMEND
	;;#ASMSTART
	v_dot2_f32_f16 v19, v70, v90, v19
	;;#ASMEND
	;; [unrolled: 3-line block ×28, first 2 shown]
	ds_read_b128 v[69:72], v34 offset:112
	ds_read_b128 v[73:76], v34 offset:4720
	ds_read_b128 v[77:80], v34 offset:9328
	ds_read_b128 v[81:84], v34 offset:13936
	ds_read_b128 v[85:88], v23 offset:1008
	ds_read_b128 v[89:92], v23 offset:2160
	s_waitcnt lgkmcnt(1)
	;;#ASMSTART
	v_dot2_f32_f16 v18, v69, v85, v18
	;;#ASMEND
	;;#ASMSTART
	v_dot2_f32_f16 v18, v70, v86, v18
	;;#ASMEND
	;; [unrolled: 3-line block ×4, first 2 shown]
	s_waitcnt lgkmcnt(0)
	;;#ASMSTART
	v_dot2_f32_f16 v19, v69, v89, v19
	;;#ASMEND
	;;#ASMSTART
	v_dot2_f32_f16 v19, v70, v90, v19
	;;#ASMEND
	;; [unrolled: 3-line block ×28, first 2 shown]
	s_barrier
	global_load_dwordx4 v[69:72], v[1:2], off offset:1024
	s_waitcnt vmcnt(0)
	ds_write_b128 v32, v[69:72]
	global_load_dwordx4 v[1:4], v[3:4], off offset:1024
	s_waitcnt vmcnt(0)
	ds_write_b128 v33, v[1:4]
	s_waitcnt lgkmcnt(0)
	s_barrier
	ds_read_b128 v[1:4], v34
	ds_read_b128 v[69:72], v34 offset:4608
	ds_read_b128 v[73:76], v34 offset:9216
	;; [unrolled: 1-line block ×5, first 2 shown]
	s_waitcnt lgkmcnt(1)
	;;#ASMSTART
	v_dot2_f32_f16 v18, v1, v81, v18
	;;#ASMEND
	;;#ASMSTART
	v_dot2_f32_f16 v18, v2, v82, v18
	;;#ASMEND
	;; [unrolled: 3-line block ×4, first 2 shown]
	s_waitcnt lgkmcnt(0)
	;;#ASMSTART
	v_dot2_f32_f16 v19, v1, v85, v19
	;;#ASMEND
	;;#ASMSTART
	v_dot2_f32_f16 v19, v2, v86, v19
	;;#ASMEND
	;;#ASMSTART
	v_dot2_f32_f16 v19, v3, v87, v19
	;;#ASMEND
	;;#ASMSTART
	v_dot2_f32_f16 v19, v4, v88, v19
	;;#ASMEND
	;;#ASMSTART
	v_dot2_f32_f16 v64, v69, v81, v64
	;;#ASMEND
	;;#ASMSTART
	v_dot2_f32_f16 v64, v70, v82, v64
	;;#ASMEND
	;;#ASMSTART
	v_dot2_f32_f16 v64, v71, v83, v64
	;;#ASMEND
	;;#ASMSTART
	v_dot2_f32_f16 v64, v72, v84, v64
	;;#ASMEND
	;;#ASMSTART
	v_dot2_f32_f16 v63, v69, v85, v63
	;;#ASMEND
	;;#ASMSTART
	v_dot2_f32_f16 v63, v70, v86, v63
	;;#ASMEND
	;;#ASMSTART
	v_dot2_f32_f16 v63, v71, v87, v63
	;;#ASMEND
	;;#ASMSTART
	v_dot2_f32_f16 v63, v72, v88, v63
	;;#ASMEND
	;;#ASMSTART
	v_dot2_f32_f16 v66, v73, v81, v66
	;;#ASMEND
	;;#ASMSTART
	v_dot2_f32_f16 v66, v74, v82, v66
	;;#ASMEND
	;;#ASMSTART
	v_dot2_f32_f16 v66, v75, v83, v66
	;;#ASMEND
	;;#ASMSTART
	v_dot2_f32_f16 v66, v76, v84, v66
	;;#ASMEND
	;;#ASMSTART
	v_dot2_f32_f16 v65, v73, v85, v65
	;;#ASMEND
	;;#ASMSTART
	v_dot2_f32_f16 v65, v74, v86, v65
	;;#ASMEND
	;;#ASMSTART
	v_dot2_f32_f16 v65, v75, v87, v65
	;;#ASMEND
	;;#ASMSTART
	v_dot2_f32_f16 v65, v76, v88, v65
	;;#ASMEND
	;;#ASMSTART
	v_dot2_f32_f16 v68, v77, v81, v68
	;;#ASMEND
	;;#ASMSTART
	v_dot2_f32_f16 v68, v78, v82, v68
	;;#ASMEND
	;;#ASMSTART
	v_dot2_f32_f16 v68, v79, v83, v68
	;;#ASMEND
	;;#ASMSTART
	v_dot2_f32_f16 v68, v80, v84, v68
	;;#ASMEND
	;;#ASMSTART
	v_dot2_f32_f16 v67, v77, v85, v67
	;;#ASMEND
	;;#ASMSTART
	v_dot2_f32_f16 v67, v78, v86, v67
	;;#ASMEND
	;;#ASMSTART
	v_dot2_f32_f16 v67, v79, v87, v67
	;;#ASMEND
	;;#ASMSTART
	v_dot2_f32_f16 v67, v80, v88, v67
	;;#ASMEND
	ds_read_b128 v[1:4], v34 offset:16
	ds_read_b128 v[69:72], v34 offset:4624
	;; [unrolled: 1-line block ×6, first 2 shown]
	s_waitcnt lgkmcnt(1)
	;;#ASMSTART
	v_dot2_f32_f16 v18, v1, v81, v18
	;;#ASMEND
	;;#ASMSTART
	v_dot2_f32_f16 v18, v2, v82, v18
	;;#ASMEND
	;; [unrolled: 3-line block ×4, first 2 shown]
	s_waitcnt lgkmcnt(0)
	;;#ASMSTART
	v_dot2_f32_f16 v19, v1, v85, v19
	;;#ASMEND
	;;#ASMSTART
	v_dot2_f32_f16 v19, v2, v86, v19
	;;#ASMEND
	;; [unrolled: 3-line block ×28, first 2 shown]
	ds_read_b128 v[1:4], v34 offset:32
	ds_read_b128 v[69:72], v34 offset:4640
	ds_read_b128 v[73:76], v34 offset:9248
	ds_read_b128 v[77:80], v34 offset:13856
	ds_read_b128 v[81:84], v23 offset:1056
	ds_read_b128 v[85:88], v23 offset:2208
	s_waitcnt lgkmcnt(1)
	;;#ASMSTART
	v_dot2_f32_f16 v18, v1, v81, v18
	;;#ASMEND
	;;#ASMSTART
	v_dot2_f32_f16 v18, v2, v82, v18
	;;#ASMEND
	;; [unrolled: 3-line block ×4, first 2 shown]
	s_waitcnt lgkmcnt(0)
	;;#ASMSTART
	v_dot2_f32_f16 v19, v1, v85, v19
	;;#ASMEND
	;;#ASMSTART
	v_dot2_f32_f16 v19, v2, v86, v19
	;;#ASMEND
	;; [unrolled: 3-line block ×28, first 2 shown]
	ds_read_b128 v[1:4], v34 offset:48
	ds_read_b128 v[69:72], v34 offset:4656
	ds_read_b128 v[73:76], v34 offset:9264
	ds_read_b128 v[77:80], v34 offset:13872
	ds_read_b128 v[81:84], v23 offset:1072
	ds_read_b128 v[85:88], v23 offset:2224
	s_waitcnt lgkmcnt(1)
	;;#ASMSTART
	v_dot2_f32_f16 v18, v1, v81, v18
	;;#ASMEND
	;;#ASMSTART
	v_dot2_f32_f16 v18, v2, v82, v18
	;;#ASMEND
	;; [unrolled: 3-line block ×4, first 2 shown]
	s_waitcnt lgkmcnt(0)
	;;#ASMSTART
	v_dot2_f32_f16 v19, v1, v85, v19
	;;#ASMEND
	;;#ASMSTART
	v_dot2_f32_f16 v19, v2, v86, v19
	;;#ASMEND
	;; [unrolled: 3-line block ×28, first 2 shown]
	ds_read_b128 v[1:4], v34 offset:64
	ds_read_b128 v[69:72], v34 offset:4672
	;; [unrolled: 1-line block ×6, first 2 shown]
	s_waitcnt lgkmcnt(1)
	;;#ASMSTART
	v_dot2_f32_f16 v18, v1, v81, v18
	;;#ASMEND
	;;#ASMSTART
	v_dot2_f32_f16 v18, v2, v82, v18
	;;#ASMEND
	;; [unrolled: 3-line block ×4, first 2 shown]
	s_waitcnt lgkmcnt(0)
	;;#ASMSTART
	v_dot2_f32_f16 v19, v1, v85, v19
	;;#ASMEND
	;;#ASMSTART
	v_dot2_f32_f16 v19, v2, v86, v19
	;;#ASMEND
	;; [unrolled: 3-line block ×28, first 2 shown]
	ds_read_b128 v[1:4], v34 offset:80
	ds_read_b128 v[69:72], v34 offset:4688
	;; [unrolled: 1-line block ×6, first 2 shown]
	s_waitcnt lgkmcnt(1)
	;;#ASMSTART
	v_dot2_f32_f16 v18, v1, v81, v18
	;;#ASMEND
	;;#ASMSTART
	v_dot2_f32_f16 v18, v2, v82, v18
	;;#ASMEND
	;; [unrolled: 3-line block ×4, first 2 shown]
	s_waitcnt lgkmcnt(0)
	;;#ASMSTART
	v_dot2_f32_f16 v19, v1, v85, v19
	;;#ASMEND
	;;#ASMSTART
	v_dot2_f32_f16 v19, v2, v86, v19
	;;#ASMEND
	;; [unrolled: 3-line block ×28, first 2 shown]
	ds_read_b128 v[1:4], v34 offset:96
	ds_read_b128 v[69:72], v34 offset:4704
	;; [unrolled: 1-line block ×6, first 2 shown]
	s_waitcnt lgkmcnt(1)
	;;#ASMSTART
	v_dot2_f32_f16 v18, v1, v81, v18
	;;#ASMEND
	;;#ASMSTART
	v_dot2_f32_f16 v18, v2, v82, v18
	;;#ASMEND
	;; [unrolled: 3-line block ×4, first 2 shown]
	s_waitcnt lgkmcnt(0)
	;;#ASMSTART
	v_dot2_f32_f16 v19, v1, v85, v19
	;;#ASMEND
	;;#ASMSTART
	v_dot2_f32_f16 v19, v2, v86, v19
	;;#ASMEND
	;; [unrolled: 3-line block ×28, first 2 shown]
	ds_read_b128 v[1:4], v34 offset:112
	ds_read_b128 v[69:72], v34 offset:4720
	;; [unrolled: 1-line block ×6, first 2 shown]
	s_waitcnt lgkmcnt(1)
	;;#ASMSTART
	v_dot2_f32_f16 v18, v1, v81, v18
	;;#ASMEND
	;;#ASMSTART
	v_dot2_f32_f16 v18, v2, v82, v18
	;;#ASMEND
	;; [unrolled: 3-line block ×4, first 2 shown]
	s_waitcnt lgkmcnt(0)
	;;#ASMSTART
	v_dot2_f32_f16 v19, v1, v85, v19
	;;#ASMEND
	;;#ASMSTART
	v_dot2_f32_f16 v19, v2, v86, v19
	;;#ASMEND
	;;#ASMSTART
	v_dot2_f32_f16 v19, v3, v87, v19
	;;#ASMEND
	;;#ASMSTART
	v_dot2_f32_f16 v19, v4, v88, v19
	;;#ASMEND
	;;#ASMSTART
	v_dot2_f32_f16 v64, v69, v81, v64
	;;#ASMEND
	;;#ASMSTART
	v_dot2_f32_f16 v64, v70, v82, v64
	;;#ASMEND
	;;#ASMSTART
	v_dot2_f32_f16 v64, v71, v83, v64
	;;#ASMEND
	;;#ASMSTART
	v_dot2_f32_f16 v64, v72, v84, v64
	;;#ASMEND
	;;#ASMSTART
	v_dot2_f32_f16 v63, v69, v85, v63
	;;#ASMEND
	;;#ASMSTART
	v_dot2_f32_f16 v63, v70, v86, v63
	;;#ASMEND
	;;#ASMSTART
	v_dot2_f32_f16 v63, v71, v87, v63
	;;#ASMEND
	;;#ASMSTART
	v_dot2_f32_f16 v63, v72, v88, v63
	;;#ASMEND
	;;#ASMSTART
	v_dot2_f32_f16 v66, v73, v81, v66
	;;#ASMEND
	;;#ASMSTART
	v_dot2_f32_f16 v66, v74, v82, v66
	;;#ASMEND
	;;#ASMSTART
	v_dot2_f32_f16 v66, v75, v83, v66
	;;#ASMEND
	v_cndmask_b32_e32 v2, v24, v30, vcc
	v_cmp_lt_i32_e32 vcc, v29, v25
	;;#ASMSTART
	v_dot2_f32_f16 v66, v76, v84, v66
	;;#ASMEND
	;;#ASMSTART
	v_dot2_f32_f16 v65, v73, v85, v65
	;;#ASMEND
	v_lshlrev_b32_e32 v3, 2, v2
	v_cndmask_b32_e32 v2, v24, v29, vcc
	v_cmp_lt_i32_e32 vcc, v28, v25
	;;#ASMSTART
	v_dot2_f32_f16 v65, v74, v86, v65
	;;#ASMEND
	v_lshlrev_b32_e32 v4, 2, v2
	v_cndmask_b32_e32 v2, v24, v28, vcc
	v_cmp_lt_i32_e32 vcc, v27, v25
	;; [unrolled: 6-line block ×3, first 2 shown]
	;;#ASMSTART
	v_dot2_f32_f16 v65, v76, v88, v65
	;;#ASMEND
	;;#ASMSTART
	v_dot2_f32_f16 v68, v77, v81, v68
	;;#ASMEND
	v_add_u32_e32 v1, s6, v13
	v_lshlrev_b32_e32 v70, 2, v2
	v_cndmask_b32_e32 v2, v24, v26, vcc
	;;#ASMSTART
	v_dot2_f32_f16 v68, v78, v82, v68
	;;#ASMEND
	v_lshlrev_b32_e32 v71, 2, v2
	v_ashrrev_i32_e32 v2, 31, v1
	;;#ASMSTART
	v_dot2_f32_f16 v68, v79, v83, v68
	;;#ASMEND
	v_lshlrev_b64 v[1:2], 1, v[1:2]
	;;#ASMSTART
	v_dot2_f32_f16 v68, v80, v84, v68
	;;#ASMEND
	;;#ASMSTART
	v_dot2_f32_f16 v67, v77, v85, v67
	;;#ASMEND
	;; [unrolled: 3-line block ×3, first 2 shown]
	v_add_co_u32_e32 v1, vcc, s26, v1
	;;#ASMSTART
	v_dot2_f32_f16 v67, v79, v87, v67
	;;#ASMEND
	v_addc_co_u32_e32 v2, vcc, v42, v2, vcc
	;;#ASMSTART
	v_dot2_f32_f16 v67, v80, v88, v67
	;;#ASMEND
	global_load_ushort v72, v[1:2], off
	global_load_ushort v74, v[1:2], off offset:64
	s_waitcnt vmcnt(1)
	v_cvt_f32_f16_e32 v72, v72
	s_waitcnt vmcnt(0)
	v_cvt_f32_f16_e32 v74, v74
	v_add_f32_e32 v73, v18, v72
	v_add_f32_e32 v64, v64, v74
	;; [unrolled: 1-line block ×4, first 2 shown]
	v_max3_f32 v18, v52, v18, v75
	global_load_ushort v75, v[1:2], off offset:128
	v_add_f32_e32 v72, v19, v72
	global_load_ushort v1, v[1:2], off offset:192
	v_add_f32_e32 v74, v63, v74
	v_add_f32_e32 v19, 0x40051340, v74
	s_waitcnt vmcnt(0)
	s_barrier
	v_cvt_f32_f16_e32 v75, v75
	v_cvt_f32_f16_e32 v1, v1
	v_add_f32_e32 v66, v66, v75
	v_add_f32_e32 v76, 0x40051340, v66
	;; [unrolled: 1-line block ×4, first 2 shown]
	v_max3_f32 v2, v18, v76, v2
	ds_bpermute_b32 v18, v3, v2
	v_add_f32_e32 v65, v65, v75
	v_add_f32_e32 v67, v67, v1
	;; [unrolled: 1-line block ×3, first 2 shown]
	s_waitcnt lgkmcnt(0)
	v_max_f32_e32 v18, v18, v18
	v_max_f32_e32 v2, v2, v18
	ds_bpermute_b32 v18, v4, v2
	s_waitcnt lgkmcnt(0)
	v_max_f32_e32 v18, v18, v18
	v_max_f32_e32 v2, v2, v18
	ds_bpermute_b32 v18, v69, v2
	;; [unrolled: 4-line block ×4, first 2 shown]
	s_waitcnt lgkmcnt(0)
	v_max_f32_e32 v18, v18, v18
	v_max_f32_e32 v18, v2, v18
	v_add_f32_e32 v2, 0x40051340, v72
	v_max3_f32 v2, v61, v2, v19
	v_add_f32_e32 v19, 0x40051340, v65
	v_max3_f32 v1, v2, v19, v1
	ds_bpermute_b32 v2, v3, v1
	v_sub_f32_e32 v63, v52, v18
	s_waitcnt lgkmcnt(0)
	v_max_f32_e32 v2, v2, v2
	v_max_f32_e32 v1, v1, v2
	ds_bpermute_b32 v2, v4, v1
	s_waitcnt lgkmcnt(0)
	v_max_f32_e32 v2, v2, v2
	v_max_f32_e32 v1, v1, v2
	ds_bpermute_b32 v2, v69, v1
	;; [unrolled: 4-line block ×4, first 2 shown]
	s_waitcnt lgkmcnt(0)
	v_max_f32_e32 v2, v2, v2
	v_max_f32_e32 v19, v1, v2
	v_sub_f32_e32 v1, v73, v18
	v_mul_f32_e32 v2, 0x3fb8aa3b, v1
	v_fma_f32 v3, v1, s12, -v2
	v_rndne_f32_e32 v4, v2
	v_fmac_f32_e32 v3, 0x32a5705f, v1
	v_sub_f32_e32 v2, v2, v4
	v_add_f32_e32 v2, v2, v3
	v_exp_f32_e32 v2, v2
	v_cvt_i32_f32_e32 v3, v4
	v_cmp_ngt_f32_e32 vcc, s13, v1
	v_ldexp_f32 v2, v2, v3
	v_sub_f32_e32 v3, v64, v18
	v_mul_f32_e32 v4, 0x3fb8aa3b, v3
	v_fma_f32 v52, v3, s12, -v4
	v_rndne_f32_e32 v64, v4
	v_fmac_f32_e32 v52, 0x32a5705f, v3
	v_sub_f32_e32 v4, v4, v64
	v_add_f32_e32 v4, v4, v52
	v_exp_f32_e32 v4, v4
	v_cvt_i32_f32_e32 v52, v64
	v_cndmask_b32_e32 v2, 0, v2, vcc
	v_cmp_nlt_f32_e32 vcc, s14, v1
	v_cndmask_b32_e32 v2, v43, v2, vcc
	v_ldexp_f32 v4, v4, v52
	v_cmp_ngt_f32_e32 vcc, s13, v3
	v_cndmask_b32_e32 v4, 0, v4, vcc
	v_cmp_nlt_f32_e32 vcc, s14, v3
	v_cndmask_b32_e32 v3, v43, v4, vcc
	v_cvt_f16_f32_e32 v1, v2
	v_add_f32_e32 v4, v2, v3
	v_cvt_f16_f32_e32 v2, v3
	v_sub_f32_e32 v3, v66, v18
	v_mul_f32_e32 v52, 0x3fb8aa3b, v3
	v_fma_f32 v64, v3, s12, -v52
	v_rndne_f32_e32 v66, v52
	v_fmac_f32_e32 v64, 0x32a5705f, v3
	v_sub_f32_e32 v52, v52, v66
	v_add_f32_e32 v52, v52, v64
	v_exp_f32_e32 v52, v52
	v_cvt_i32_f32_e32 v64, v66
	v_cmp_ngt_f32_e32 vcc, s13, v3
	v_ldexp_f32 v52, v52, v64
	v_cndmask_b32_e32 v52, 0, v52, vcc
	v_cmp_nlt_f32_e32 vcc, s14, v3
	v_cndmask_b32_e32 v3, v43, v52, vcc
	v_sub_f32_e32 v52, v68, v18
	v_mul_f32_e32 v64, 0x3fb8aa3b, v52
	v_fma_f32 v66, v52, s12, -v64
	v_rndne_f32_e32 v68, v64
	v_fmac_f32_e32 v66, 0x32a5705f, v52
	v_sub_f32_e32 v64, v64, v68
	v_add_f32_e32 v64, v64, v66
	v_exp_f32_e32 v64, v64
	v_cvt_i32_f32_e32 v66, v68
	v_cmp_ngt_f32_e32 vcc, s13, v52
	v_add_f32_e32 v4, v3, v4
	v_cvt_f16_f32_e32 v3, v3
	v_ldexp_f32 v64, v64, v66
	v_cndmask_b32_e32 v64, 0, v64, vcc
	v_cmp_nlt_f32_e32 vcc, s14, v52
	v_cndmask_b32_e32 v64, v43, v64, vcc
	v_add_f32_e32 v52, v64, v4
	v_cvt_f16_f32_e32 v4, v64
	v_mul_f32_e32 v64, 0x3fb8aa3b, v63
	v_fma_f32 v66, v63, s12, -v64
	v_rndne_f32_e32 v68, v64
	v_fmac_f32_e32 v66, 0x32a5705f, v63
	v_sub_f32_e32 v64, v64, v68
	v_add_f32_e32 v64, v64, v66
	v_exp_f32_e32 v64, v64
	v_cvt_i32_f32_e32 v66, v68
	v_cmp_ngt_f32_e32 vcc, s13, v63
	v_sub_f32_e32 v68, v61, v19
	v_ldexp_f32 v64, v64, v66
	v_cndmask_b32_e32 v64, 0, v64, vcc
	v_cmp_nlt_f32_e32 vcc, s14, v63
	v_cndmask_b32_e32 v63, v43, v64, vcc
	v_fmac_f32_e32 v52, v62, v63
	v_cvt_f16_f32_e32 v62, v63
	v_mul_u32_u24_e32 v63, 0x10001, v62
	v_pk_mul_f16 v62, v60, v63
	v_pk_mul_f16 v60, v58, v63
	;; [unrolled: 1-line block ×5, first 2 shown]
	v_sub_f32_e32 v55, v72, v19
	v_mul_f32_e32 v61, 0x3fb8aa3b, v55
	v_fma_f32 v64, v55, s12, -v61
	v_rndne_f32_e32 v66, v61
	v_fmac_f32_e32 v64, 0x32a5705f, v55
	v_sub_f32_e32 v61, v61, v66
	v_add_f32_e32 v61, v61, v64
	v_exp_f32_e32 v61, v61
	v_cvt_i32_f32_e32 v64, v66
	v_cmp_ngt_f32_e32 vcc, s13, v55
	v_pk_mul_f16 v59, v59, v63
	v_pk_mul_f16 v57, v57, v63
	v_ldexp_f32 v61, v61, v64
	v_sub_f32_e32 v64, v74, v19
	v_mul_f32_e32 v66, 0x3fb8aa3b, v64
	v_fma_f32 v69, v64, s12, -v66
	v_rndne_f32_e32 v70, v66
	v_fmac_f32_e32 v69, 0x32a5705f, v64
	v_sub_f32_e32 v66, v66, v70
	v_add_f32_e32 v66, v66, v69
	v_exp_f32_e32 v66, v66
	v_cvt_i32_f32_e32 v69, v70
	v_cndmask_b32_e32 v61, 0, v61, vcc
	v_cmp_nlt_f32_e32 vcc, s14, v55
	v_cndmask_b32_e32 v61, v43, v61, vcc
	v_ldexp_f32 v66, v66, v69
	v_cmp_ngt_f32_e32 vcc, s13, v64
	v_cndmask_b32_e32 v66, 0, v66, vcc
	v_cmp_nlt_f32_e32 vcc, s14, v64
	v_cndmask_b32_e32 v64, v43, v66, vcc
	v_cvt_f16_f32_e32 v55, v61
	v_add_f32_e32 v66, v61, v64
	v_cvt_f16_f32_e32 v61, v64
	v_sub_f32_e32 v64, v65, v19
	v_mul_f32_e32 v65, 0x3fb8aa3b, v64
	v_fma_f32 v69, v64, s12, -v65
	v_rndne_f32_e32 v70, v65
	v_fmac_f32_e32 v69, 0x32a5705f, v64
	v_sub_f32_e32 v65, v65, v70
	v_add_f32_e32 v65, v65, v69
	v_exp_f32_e32 v65, v65
	v_cvt_i32_f32_e32 v69, v70
	v_cmp_ngt_f32_e32 vcc, s13, v64
	v_pack_b32_f16 v1, v1, v55
	v_pack_b32_f16 v2, v2, v61
	v_ldexp_f32 v65, v65, v69
	v_cndmask_b32_e32 v65, 0, v65, vcc
	v_cmp_nlt_f32_e32 vcc, s14, v64
	v_cndmask_b32_e32 v64, v43, v65, vcc
	v_add_f32_e32 v65, v64, v66
	v_sub_f32_e32 v66, v67, v19
	v_mul_f32_e32 v67, 0x3fb8aa3b, v66
	v_fma_f32 v69, v66, s12, -v67
	v_rndne_f32_e32 v70, v67
	v_fmac_f32_e32 v69, 0x32a5705f, v66
	v_sub_f32_e32 v67, v67, v70
	v_add_f32_e32 v67, v67, v69
	v_exp_f32_e32 v67, v67
	v_cvt_i32_f32_e32 v69, v70
	v_cmp_ngt_f32_e32 vcc, s13, v66
	v_cvt_f16_f32_e32 v64, v64
	ds_write2_b32 v44, v1, v2 offset1:32
	v_ldexp_f32 v67, v67, v69
	v_cndmask_b32_e32 v67, 0, v67, vcc
	v_cmp_nlt_f32_e32 vcc, s14, v66
	v_cndmask_b32_e32 v67, v43, v67, vcc
	v_add_f32_e32 v66, v67, v65
	v_cvt_f16_f32_e32 v65, v67
	v_mul_f32_e32 v67, 0x3fb8aa3b, v68
	v_fma_f32 v69, v68, s12, -v67
	v_rndne_f32_e32 v70, v67
	v_fmac_f32_e32 v69, 0x32a5705f, v68
	v_sub_f32_e32 v67, v67, v70
	v_add_f32_e32 v67, v67, v69
	v_exp_f32_e32 v67, v67
	v_cvt_i32_f32_e32 v69, v70
	v_cmp_ngt_f32_e32 vcc, s13, v68
	v_pack_b32_f16 v1, v3, v64
	v_pack_b32_f16 v2, v4, v65
	v_ldexp_f32 v67, v67, v69
	v_cndmask_b32_e32 v67, 0, v67, vcc
	v_cmp_nlt_f32_e32 vcc, s14, v68
	v_cndmask_b32_e32 v67, v43, v67, vcc
	v_mov_b32_e32 v68, v31
	v_mov_b32_e32 v31, v66
	v_cvt_f16_f32_e32 v66, v67
	ds_write2_b32 v44, v1, v2 offset0:64 offset1:96
	v_mov_b32_e32 v1, s19
	v_fmac_f32_e32 v31, v68, v67
	v_mul_u32_u24_e32 v80, 0x10001, v66
	v_pk_mul_f16 v84, v7, v80
	v_add_co_u32_e32 v7, vcc, s18, v39
	v_pk_mul_f16 v82, v8, v80
	v_addc_co_u32_e32 v8, vcc, v40, v1, vcc
	global_load_dwordx4 v[1:4], v[7:8], off
	v_pk_mul_f16 v81, v10, v80
	v_pk_mul_f16 v83, v9, v80
	;; [unrolled: 1-line block ×5, first 2 shown]
	s_or_b32 s18, s6, 16
	s_mul_hi_i32 s19, s18, s8
	s_mul_i32 s18, s18, s8
	s_lshl_b64 s[18:19], s[18:19], 2
	s_waitcnt vmcnt(0)
	ds_write_b128 v36, v[1:4]
	global_load_dwordx4 v[1:4], v[7:8], off offset:512
	s_waitcnt vmcnt(0)
	ds_write_b128 v37, v[1:4]
	s_waitcnt lgkmcnt(0)
	s_barrier
	ds_read2_b64 v[7:10], v38 offset1:32
	ds_read2_b64 v[64:67], v38 offset0:64 offset1:96
	ds_read_b128 v[68:71], v35
	ds_read_b128 v[72:75], v35 offset:16
	ds_read_b128 v[76:79], v35 offset:32
	;; [unrolled: 1-line block ×3, first 2 shown]
	s_waitcnt lgkmcnt(3)
	v_mul_u32_u24_sdwa v55, v68, s15 dst_sel:DWORD dst_unused:UNUSED_PAD src0_sel:WORD_0 src1_sel:DWORD
	v_mul_u32_u24_sdwa v61, v68, s15 dst_sel:DWORD dst_unused:UNUSED_PAD src0_sel:WORD_1 src1_sel:DWORD
	v_pk_mul_f16 v68, v7, v55
	v_pk_mul_f16 v7, v7, v61
	v_pk_fma_f16 v53, v53, v63, v68
	v_pk_fma_f16 v63, v6, v80, v7
	;; [unrolled: 1-line block ×13, first 2 shown]
	ds_read2_b64 v[5:8], v38 offset0:128 offset1:160
	ds_read2_b64 v[9:12], v38 offset0:192 offset1:224
	v_pk_fma_f16 v64, v64, v61, v82
	v_pk_fma_f16 v65, v65, v61, v83
	;; [unrolled: 1-line block ×3, first 2 shown]
	v_mul_u32_u24_sdwa v61, v69, s15 dst_sel:DWORD dst_unused:UNUSED_PAD src0_sel:WORD_0 src1_sel:DWORD
	v_mul_u32_u24_sdwa v67, v69, s15 dst_sel:DWORD dst_unused:UNUSED_PAD src0_sel:WORD_1 src1_sel:DWORD
	s_waitcnt lgkmcnt(1)
	v_pk_fma_f16 v53, v5, v61, v53
	v_pk_fma_f16 v63, v5, v67, v63
	v_pk_fma_f16 v62, v6, v61, v62
	v_pk_fma_f16 v68, v6, v67, v68
	v_pk_fma_f16 v60, v7, v61, v60
	v_pk_fma_f16 v69, v7, v67, v80
	v_pk_fma_f16 v59, v8, v61, v59
	v_pk_fma_f16 v80, v8, v67, v81
	s_waitcnt lgkmcnt(0)
	v_pk_fma_f16 v58, v9, v61, v58
	v_pk_fma_f16 v64, v9, v67, v64
	v_pk_fma_f16 v57, v10, v61, v57
	v_pk_fma_f16 v65, v10, v67, v65
	v_pk_fma_f16 v56, v11, v61, v56
	v_pk_fma_f16 v66, v11, v67, v66
	v_pk_fma_f16 v54, v12, v61, v54
	v_pk_fma_f16 v55, v12, v67, v55
	ds_read2_b64 v[5:8], v45 offset1:32
	ds_read2_b64 v[9:12], v45 offset0:64 offset1:96
	v_mul_u32_u24_sdwa v61, v70, s15 dst_sel:DWORD dst_unused:UNUSED_PAD src0_sel:WORD_0 src1_sel:DWORD
	v_mul_u32_u24_sdwa v67, v70, s15 dst_sel:DWORD dst_unused:UNUSED_PAD src0_sel:WORD_1 src1_sel:DWORD
	s_waitcnt lgkmcnt(1)
	v_pk_fma_f16 v53, v5, v61, v53
	v_pk_fma_f16 v63, v5, v67, v63
	v_pk_fma_f16 v62, v6, v61, v62
	v_pk_fma_f16 v68, v6, v67, v68
	v_pk_fma_f16 v60, v7, v61, v60
	v_pk_fma_f16 v69, v7, v67, v69
	v_pk_fma_f16 v59, v8, v61, v59
	v_pk_fma_f16 v70, v8, v67, v80
	s_waitcnt lgkmcnt(0)
	v_pk_fma_f16 v58, v9, v61, v58
	v_pk_fma_f16 v64, v9, v67, v64
	v_pk_fma_f16 v57, v10, v61, v57
	v_pk_fma_f16 v65, v10, v67, v65
	v_pk_fma_f16 v56, v11, v61, v56
	v_pk_fma_f16 v66, v11, v67, v66
	v_pk_fma_f16 v54, v12, v61, v54
	v_pk_fma_f16 v55, v12, v67, v55
	ds_read2_b64 v[5:8], v45 offset0:128 offset1:160
	ds_read2_b64 v[9:12], v45 offset0:192 offset1:224
	v_mul_u32_u24_sdwa v61, v71, s15 dst_sel:DWORD dst_unused:UNUSED_PAD src0_sel:WORD_0 src1_sel:DWORD
	v_mul_u32_u24_sdwa v67, v71, s15 dst_sel:DWORD dst_unused:UNUSED_PAD src0_sel:WORD_1 src1_sel:DWORD
	s_waitcnt lgkmcnt(1)
	v_pk_fma_f16 v53, v5, v61, v53
	v_pk_fma_f16 v63, v5, v67, v63
	v_pk_fma_f16 v62, v6, v61, v62
	v_pk_fma_f16 v68, v6, v67, v68
	v_pk_fma_f16 v60, v7, v61, v60
	v_pk_fma_f16 v69, v7, v67, v69
	v_pk_fma_f16 v59, v8, v61, v59
	v_pk_fma_f16 v70, v8, v67, v70
	s_waitcnt lgkmcnt(0)
	v_pk_fma_f16 v58, v9, v61, v58
	v_pk_fma_f16 v64, v9, v67, v64
	v_pk_fma_f16 v57, v10, v61, v57
	v_pk_fma_f16 v65, v10, v67, v65
	v_pk_fma_f16 v56, v11, v61, v56
	v_pk_fma_f16 v66, v11, v67, v66
	v_pk_fma_f16 v54, v12, v61, v54
	v_pk_fma_f16 v55, v12, v67, v55
	ds_read2_b64 v[5:8], v46 offset1:32
	ds_read2_b64 v[9:12], v46 offset0:64 offset1:96
	v_mul_u32_u24_sdwa v61, v72, s15 dst_sel:DWORD dst_unused:UNUSED_PAD src0_sel:WORD_0 src1_sel:DWORD
	v_mul_u32_u24_sdwa v67, v72, s15 dst_sel:DWORD dst_unused:UNUSED_PAD src0_sel:WORD_1 src1_sel:DWORD
	s_waitcnt lgkmcnt(1)
	v_pk_fma_f16 v53, v5, v61, v53
	v_pk_fma_f16 v63, v5, v67, v63
	v_pk_fma_f16 v62, v6, v61, v62
	v_pk_fma_f16 v68, v6, v67, v68
	v_pk_fma_f16 v60, v7, v61, v60
	v_pk_fma_f16 v69, v7, v67, v69
	v_pk_fma_f16 v59, v8, v61, v59
	v_pk_fma_f16 v70, v8, v67, v70
	s_waitcnt lgkmcnt(0)
	v_pk_fma_f16 v58, v9, v61, v58
	v_pk_fma_f16 v64, v9, v67, v64
	v_pk_fma_f16 v57, v10, v61, v57
	v_pk_fma_f16 v65, v10, v67, v65
	v_pk_fma_f16 v56, v11, v61, v56
	v_pk_fma_f16 v66, v11, v67, v66
	v_pk_fma_f16 v54, v12, v61, v54
	v_pk_fma_f16 v55, v12, v67, v55
	ds_read2_b64 v[5:8], v46 offset0:128 offset1:160
	ds_read2_b64 v[9:12], v46 offset0:192 offset1:224
	;; [unrolled: 44-line block ×6, first 2 shown]
	v_mul_u32_u24_sdwa v55, v2, s15 dst_sel:DWORD dst_unused:UNUSED_PAD src0_sel:WORD_0 src1_sel:DWORD
	v_mul_u32_u24_sdwa v2, v2, s15 dst_sel:DWORD dst_unused:UNUSED_PAD src0_sel:WORD_1 src1_sel:DWORD
	s_waitcnt lgkmcnt(1)
	v_pk_fma_f16 v53, v5, v55, v53
	v_pk_fma_f16 v61, v5, v2, v63
	;; [unrolled: 1-line block ×8, first 2 shown]
	s_waitcnt lgkmcnt(0)
	v_pk_fma_f16 v58, v9, v55, v58
	v_pk_fma_f16 v64, v9, v2, v64
	;; [unrolled: 1-line block ×8, first 2 shown]
	ds_read2_b64 v[5:8], v51 offset1:32
	ds_read2_b64 v[9:12], v51 offset0:64 offset1:96
	v_mul_u32_u24_sdwa v2, v3, s15 dst_sel:DWORD dst_unused:UNUSED_PAD src0_sel:WORD_0 src1_sel:DWORD
	v_mul_u32_u24_sdwa v3, v3, s15 dst_sel:DWORD dst_unused:UNUSED_PAD src0_sel:WORD_1 src1_sel:DWORD
	s_waitcnt lgkmcnt(1)
	v_pk_fma_f16 v53, v5, v2, v53
	v_pk_fma_f16 v55, v5, v3, v61
	;; [unrolled: 1-line block ×6, first 2 shown]
	s_waitcnt lgkmcnt(0)
	v_pk_fma_f16 v70, v9, v2, v58
	v_pk_fma_f16 v64, v9, v3, v64
	;; [unrolled: 1-line block ×8, first 2 shown]
	ds_read2_b64 v[9:12], v51 offset0:128 offset1:160
	ds_read2_b64 v[57:60], v51 offset0:192 offset1:224
	v_pk_fma_f16 v67, v7, v3, v67
	v_pk_fma_f16 v68, v8, v3, v68
	v_mul_u32_u24_sdwa v3, v4, s15 dst_sel:DWORD dst_unused:UNUSED_PAD src0_sel:WORD_0 src1_sel:DWORD
	v_mul_u32_u24_sdwa v4, v4, s15 dst_sel:DWORD dst_unused:UNUSED_PAD src0_sel:WORD_1 src1_sel:DWORD
	s_waitcnt lgkmcnt(1)
	v_pk_fma_f16 v5, v9, v3, v53
	v_pk_fma_f16 v6, v9, v4, v55
	;; [unrolled: 1-line block ×3, first 2 shown]
	s_waitcnt lgkmcnt(0)
	v_pk_fma_f16 v53, v57, v3, v70
	v_pk_fma_f16 v54, v57, v4, v64
	;; [unrolled: 1-line block ×8, first 2 shown]
	v_add_co_u32_e32 v61, vcc, s18, v39
	v_mov_b32_e32 v1, s19
	v_pk_fma_f16 v8, v10, v4, v62
	v_addc_co_u32_e32 v62, vcc, v40, v1, vcc
	v_pk_fma_f16 v9, v11, v3, v63
	v_pk_fma_f16 v10, v11, v4, v67
	;; [unrolled: 1-line block ×4, first 2 shown]
	s_barrier
	global_load_dwordx4 v[1:4], v[61:62], off
	s_or_b32 s18, s6, 32
	s_mul_hi_i32 s19, s18, s8
	s_mul_i32 s18, s18, s8
	s_lshl_b64 s[18:19], s[18:19], 2
	s_waitcnt vmcnt(0)
	ds_write_b128 v36, v[1:4]
	global_load_dwordx4 v[1:4], v[61:62], off offset:512
	s_waitcnt vmcnt(0)
	ds_write_b128 v37, v[1:4]
	s_waitcnt lgkmcnt(0)
	s_barrier
	ds_read2_b64 v[61:64], v38 offset1:32
	ds_read2_b64 v[65:68], v38 offset0:64 offset1:96
	ds_read_b128 v[69:72], v35 offset:64
	ds_read_b128 v[73:76], v35 offset:80
	;; [unrolled: 1-line block ×4, first 2 shown]
	s_waitcnt lgkmcnt(3)
	v_mul_u32_u24_sdwa v81, v69, s15 dst_sel:DWORD dst_unused:UNUSED_PAD src0_sel:WORD_0 src1_sel:DWORD
	v_mul_u32_u24_sdwa v69, v69, s15 dst_sel:DWORD dst_unused:UNUSED_PAD src0_sel:WORD_1 src1_sel:DWORD
	v_pk_fma_f16 v82, v61, v81, v5
	v_pk_fma_f16 v61, v61, v69, v6
	;; [unrolled: 1-line block ×8, first 2 shown]
	ds_read2_b64 v[5:8], v38 offset0:128 offset1:160
	ds_read2_b64 v[9:12], v38 offset0:192 offset1:224
	v_pk_fma_f16 v53, v65, v81, v53
	v_pk_fma_f16 v54, v65, v69, v54
	;; [unrolled: 1-line block ×8, first 2 shown]
	v_mul_u32_u24_sdwa v65, v70, s15 dst_sel:DWORD dst_unused:UNUSED_PAD src0_sel:WORD_0 src1_sel:DWORD
	v_mul_u32_u24_sdwa v66, v70, s15 dst_sel:DWORD dst_unused:UNUSED_PAD src0_sel:WORD_1 src1_sel:DWORD
	s_waitcnt lgkmcnt(1)
	v_pk_fma_f16 v67, v5, v65, v82
	v_pk_fma_f16 v61, v5, v66, v61
	v_pk_fma_f16 v68, v6, v65, v83
	v_pk_fma_f16 v62, v6, v66, v62
	v_pk_fma_f16 v69, v7, v65, v84
	v_pk_fma_f16 v63, v7, v66, v63
	v_pk_fma_f16 v70, v8, v65, v85
	v_pk_fma_f16 v64, v8, v66, v64
	s_waitcnt lgkmcnt(0)
	v_pk_fma_f16 v53, v9, v65, v53
	v_pk_fma_f16 v54, v9, v66, v54
	v_pk_fma_f16 v55, v10, v65, v55
	v_pk_fma_f16 v56, v10, v66, v56
	v_pk_fma_f16 v57, v11, v65, v57
	v_pk_fma_f16 v58, v11, v66, v58
	v_pk_fma_f16 v59, v12, v65, v59
	v_pk_fma_f16 v60, v12, v66, v60
	ds_read2_b64 v[5:8], v45 offset1:32
	ds_read2_b64 v[9:12], v45 offset0:64 offset1:96
	v_mul_u32_u24_sdwa v65, v71, s15 dst_sel:DWORD dst_unused:UNUSED_PAD src0_sel:WORD_0 src1_sel:DWORD
	v_mul_u32_u24_sdwa v66, v71, s15 dst_sel:DWORD dst_unused:UNUSED_PAD src0_sel:WORD_1 src1_sel:DWORD
	s_waitcnt lgkmcnt(1)
	v_pk_fma_f16 v67, v5, v65, v67
	v_pk_fma_f16 v61, v5, v66, v61
	v_pk_fma_f16 v68, v6, v65, v68
	v_pk_fma_f16 v62, v6, v66, v62
	v_pk_fma_f16 v69, v7, v65, v69
	v_pk_fma_f16 v63, v7, v66, v63
	v_pk_fma_f16 v70, v8, v65, v70
	v_pk_fma_f16 v64, v8, v66, v64
	s_waitcnt lgkmcnt(0)
	v_pk_fma_f16 v53, v9, v65, v53
	v_pk_fma_f16 v54, v9, v66, v54
	v_pk_fma_f16 v55, v10, v65, v55
	v_pk_fma_f16 v56, v10, v66, v56
	v_pk_fma_f16 v57, v11, v65, v57
	v_pk_fma_f16 v58, v11, v66, v58
	v_pk_fma_f16 v59, v12, v65, v59
	v_pk_fma_f16 v60, v12, v66, v60
	ds_read2_b64 v[5:8], v45 offset0:128 offset1:160
	ds_read2_b64 v[9:12], v45 offset0:192 offset1:224
	v_mul_u32_u24_sdwa v65, v72, s15 dst_sel:DWORD dst_unused:UNUSED_PAD src0_sel:WORD_0 src1_sel:DWORD
	v_mul_u32_u24_sdwa v66, v72, s15 dst_sel:DWORD dst_unused:UNUSED_PAD src0_sel:WORD_1 src1_sel:DWORD
	s_waitcnt lgkmcnt(1)
	v_pk_fma_f16 v67, v5, v65, v67
	v_pk_fma_f16 v61, v5, v66, v61
	v_pk_fma_f16 v68, v6, v65, v68
	v_pk_fma_f16 v62, v6, v66, v62
	v_pk_fma_f16 v69, v7, v65, v69
	v_pk_fma_f16 v63, v7, v66, v63
	v_pk_fma_f16 v70, v8, v65, v70
	v_pk_fma_f16 v64, v8, v66, v64
	s_waitcnt lgkmcnt(0)
	v_pk_fma_f16 v53, v9, v65, v53
	v_pk_fma_f16 v54, v9, v66, v54
	v_pk_fma_f16 v55, v10, v65, v55
	v_pk_fma_f16 v56, v10, v66, v56
	v_pk_fma_f16 v57, v11, v65, v57
	v_pk_fma_f16 v58, v11, v66, v58
	v_pk_fma_f16 v59, v12, v65, v59
	v_pk_fma_f16 v60, v12, v66, v60
	ds_read2_b64 v[5:8], v46 offset1:32
	ds_read2_b64 v[9:12], v46 offset0:64 offset1:96
	v_mul_u32_u24_sdwa v65, v73, s15 dst_sel:DWORD dst_unused:UNUSED_PAD src0_sel:WORD_0 src1_sel:DWORD
	v_mul_u32_u24_sdwa v66, v73, s15 dst_sel:DWORD dst_unused:UNUSED_PAD src0_sel:WORD_1 src1_sel:DWORD
	s_waitcnt lgkmcnt(1)
	v_pk_fma_f16 v67, v5, v65, v67
	v_pk_fma_f16 v61, v5, v66, v61
	v_pk_fma_f16 v68, v6, v65, v68
	v_pk_fma_f16 v62, v6, v66, v62
	v_pk_fma_f16 v69, v7, v65, v69
	v_pk_fma_f16 v63, v7, v66, v63
	v_pk_fma_f16 v70, v8, v65, v70
	v_pk_fma_f16 v64, v8, v66, v64
	s_waitcnt lgkmcnt(0)
	v_pk_fma_f16 v53, v9, v65, v53
	v_pk_fma_f16 v54, v9, v66, v54
	v_pk_fma_f16 v55, v10, v65, v55
	v_pk_fma_f16 v56, v10, v66, v56
	v_pk_fma_f16 v57, v11, v65, v57
	v_pk_fma_f16 v58, v11, v66, v58
	v_pk_fma_f16 v59, v12, v65, v59
	v_pk_fma_f16 v60, v12, v66, v60
	ds_read2_b64 v[5:8], v46 offset0:128 offset1:160
	ds_read2_b64 v[9:12], v46 offset0:192 offset1:224
	;; [unrolled: 44-line block ×6, first 2 shown]
	v_mul_u32_u24_sdwa v60, v2, s15 dst_sel:DWORD dst_unused:UNUSED_PAD src0_sel:WORD_0 src1_sel:DWORD
	v_mul_u32_u24_sdwa v2, v2, s15 dst_sel:DWORD dst_unused:UNUSED_PAD src0_sel:WORD_1 src1_sel:DWORD
	s_waitcnt lgkmcnt(1)
	v_pk_fma_f16 v65, v5, v60, v66
	v_pk_fma_f16 v61, v5, v2, v61
	;; [unrolled: 1-line block ×8, first 2 shown]
	s_waitcnt lgkmcnt(0)
	v_pk_fma_f16 v53, v9, v60, v53
	v_pk_fma_f16 v54, v9, v2, v54
	;; [unrolled: 1-line block ×8, first 2 shown]
	ds_read2_b64 v[5:8], v51 offset1:32
	ds_read2_b64 v[9:12], v51 offset0:64 offset1:96
	v_mul_u32_u24_sdwa v2, v3, s15 dst_sel:DWORD dst_unused:UNUSED_PAD src0_sel:WORD_0 src1_sel:DWORD
	v_mul_u32_u24_sdwa v3, v3, s15 dst_sel:DWORD dst_unused:UNUSED_PAD src0_sel:WORD_1 src1_sel:DWORD
	s_waitcnt lgkmcnt(1)
	v_pk_fma_f16 v65, v5, v2, v65
	v_pk_fma_f16 v66, v6, v2, v66
	;; [unrolled: 1-line block ×4, first 2 shown]
	s_waitcnt lgkmcnt(0)
	v_pk_fma_f16 v53, v9, v2, v53
	v_pk_fma_f16 v54, v9, v3, v54
	;; [unrolled: 1-line block ×8, first 2 shown]
	ds_read2_b64 v[9:12], v51 offset0:128 offset1:160
	ds_read2_b64 v[57:60], v51 offset0:192 offset1:224
	v_pk_fma_f16 v61, v5, v3, v61
	v_pk_fma_f16 v62, v6, v3, v62
	;; [unrolled: 1-line block ×4, first 2 shown]
	v_mul_u32_u24_sdwa v3, v4, s15 dst_sel:DWORD dst_unused:UNUSED_PAD src0_sel:WORD_0 src1_sel:DWORD
	v_mul_u32_u24_sdwa v4, v4, s15 dst_sel:DWORD dst_unused:UNUSED_PAD src0_sel:WORD_1 src1_sel:DWORD
	s_waitcnt lgkmcnt(1)
	v_pk_fma_f16 v6, v9, v4, v61
	s_waitcnt lgkmcnt(0)
	v_pk_fma_f16 v53, v57, v3, v53
	v_pk_fma_f16 v54, v57, v4, v54
	;; [unrolled: 1-line block ×8, first 2 shown]
	v_add_co_u32_e32 v61, vcc, s18, v39
	v_mov_b32_e32 v1, s19
	v_pk_fma_f16 v8, v10, v4, v62
	v_addc_co_u32_e32 v62, vcc, v40, v1, vcc
	v_pk_fma_f16 v5, v9, v3, v65
	v_pk_fma_f16 v7, v10, v3, v66
	;; [unrolled: 1-line block ×6, first 2 shown]
	s_barrier
	global_load_dwordx4 v[1:4], v[61:62], off
	s_or_b32 s18, s6, 48
	s_mul_hi_i32 s19, s18, s8
	s_mul_i32 s18, s18, s8
	s_lshl_b64 s[18:19], s[18:19], 2
	s_waitcnt vmcnt(0)
	ds_write_b128 v36, v[1:4]
	global_load_dwordx4 v[1:4], v[61:62], off offset:512
	s_waitcnt vmcnt(0)
	ds_write_b128 v37, v[1:4]
	s_waitcnt lgkmcnt(0)
	s_barrier
	ds_read2_b64 v[61:64], v38 offset1:32
	ds_read2_b64 v[65:68], v38 offset0:64 offset1:96
	ds_read_b128 v[69:72], v35 offset:128
	ds_read_b128 v[73:76], v35 offset:144
	;; [unrolled: 1-line block ×4, first 2 shown]
	s_waitcnt lgkmcnt(3)
	v_mul_u32_u24_sdwa v81, v69, s15 dst_sel:DWORD dst_unused:UNUSED_PAD src0_sel:WORD_0 src1_sel:DWORD
	v_mul_u32_u24_sdwa v69, v69, s15 dst_sel:DWORD dst_unused:UNUSED_PAD src0_sel:WORD_1 src1_sel:DWORD
	v_pk_fma_f16 v82, v61, v81, v5
	v_pk_fma_f16 v61, v61, v69, v6
	;; [unrolled: 1-line block ×8, first 2 shown]
	ds_read2_b64 v[5:8], v38 offset0:128 offset1:160
	ds_read2_b64 v[9:12], v38 offset0:192 offset1:224
	v_pk_fma_f16 v53, v65, v81, v53
	v_pk_fma_f16 v54, v65, v69, v54
	;; [unrolled: 1-line block ×8, first 2 shown]
	v_mul_u32_u24_sdwa v65, v70, s15 dst_sel:DWORD dst_unused:UNUSED_PAD src0_sel:WORD_0 src1_sel:DWORD
	v_mul_u32_u24_sdwa v66, v70, s15 dst_sel:DWORD dst_unused:UNUSED_PAD src0_sel:WORD_1 src1_sel:DWORD
	s_waitcnt lgkmcnt(1)
	v_pk_fma_f16 v67, v5, v65, v82
	v_pk_fma_f16 v61, v5, v66, v61
	v_pk_fma_f16 v68, v6, v65, v83
	v_pk_fma_f16 v62, v6, v66, v62
	v_pk_fma_f16 v69, v7, v65, v84
	v_pk_fma_f16 v63, v7, v66, v63
	v_pk_fma_f16 v70, v8, v65, v85
	v_pk_fma_f16 v64, v8, v66, v64
	s_waitcnt lgkmcnt(0)
	v_pk_fma_f16 v53, v9, v65, v53
	v_pk_fma_f16 v54, v9, v66, v54
	v_pk_fma_f16 v55, v10, v65, v55
	v_pk_fma_f16 v56, v10, v66, v56
	v_pk_fma_f16 v57, v11, v65, v57
	v_pk_fma_f16 v58, v11, v66, v58
	v_pk_fma_f16 v59, v12, v65, v59
	v_pk_fma_f16 v60, v12, v66, v60
	ds_read2_b64 v[5:8], v45 offset1:32
	ds_read2_b64 v[9:12], v45 offset0:64 offset1:96
	v_mul_u32_u24_sdwa v65, v71, s15 dst_sel:DWORD dst_unused:UNUSED_PAD src0_sel:WORD_0 src1_sel:DWORD
	v_mul_u32_u24_sdwa v66, v71, s15 dst_sel:DWORD dst_unused:UNUSED_PAD src0_sel:WORD_1 src1_sel:DWORD
	s_waitcnt lgkmcnt(1)
	v_pk_fma_f16 v67, v5, v65, v67
	v_pk_fma_f16 v61, v5, v66, v61
	v_pk_fma_f16 v68, v6, v65, v68
	v_pk_fma_f16 v62, v6, v66, v62
	v_pk_fma_f16 v69, v7, v65, v69
	v_pk_fma_f16 v63, v7, v66, v63
	v_pk_fma_f16 v70, v8, v65, v70
	v_pk_fma_f16 v64, v8, v66, v64
	s_waitcnt lgkmcnt(0)
	v_pk_fma_f16 v53, v9, v65, v53
	v_pk_fma_f16 v54, v9, v66, v54
	v_pk_fma_f16 v55, v10, v65, v55
	v_pk_fma_f16 v56, v10, v66, v56
	v_pk_fma_f16 v57, v11, v65, v57
	v_pk_fma_f16 v58, v11, v66, v58
	v_pk_fma_f16 v59, v12, v65, v59
	v_pk_fma_f16 v60, v12, v66, v60
	ds_read2_b64 v[5:8], v45 offset0:128 offset1:160
	ds_read2_b64 v[9:12], v45 offset0:192 offset1:224
	v_mul_u32_u24_sdwa v65, v72, s15 dst_sel:DWORD dst_unused:UNUSED_PAD src0_sel:WORD_0 src1_sel:DWORD
	v_mul_u32_u24_sdwa v66, v72, s15 dst_sel:DWORD dst_unused:UNUSED_PAD src0_sel:WORD_1 src1_sel:DWORD
	s_waitcnt lgkmcnt(1)
	v_pk_fma_f16 v67, v5, v65, v67
	v_pk_fma_f16 v61, v5, v66, v61
	v_pk_fma_f16 v68, v6, v65, v68
	v_pk_fma_f16 v62, v6, v66, v62
	v_pk_fma_f16 v69, v7, v65, v69
	v_pk_fma_f16 v63, v7, v66, v63
	v_pk_fma_f16 v70, v8, v65, v70
	v_pk_fma_f16 v64, v8, v66, v64
	s_waitcnt lgkmcnt(0)
	v_pk_fma_f16 v53, v9, v65, v53
	v_pk_fma_f16 v54, v9, v66, v54
	v_pk_fma_f16 v55, v10, v65, v55
	v_pk_fma_f16 v56, v10, v66, v56
	v_pk_fma_f16 v57, v11, v65, v57
	v_pk_fma_f16 v58, v11, v66, v58
	v_pk_fma_f16 v59, v12, v65, v59
	v_pk_fma_f16 v60, v12, v66, v60
	ds_read2_b64 v[5:8], v46 offset1:32
	ds_read2_b64 v[9:12], v46 offset0:64 offset1:96
	v_mul_u32_u24_sdwa v65, v73, s15 dst_sel:DWORD dst_unused:UNUSED_PAD src0_sel:WORD_0 src1_sel:DWORD
	v_mul_u32_u24_sdwa v66, v73, s15 dst_sel:DWORD dst_unused:UNUSED_PAD src0_sel:WORD_1 src1_sel:DWORD
	s_waitcnt lgkmcnt(1)
	v_pk_fma_f16 v67, v5, v65, v67
	v_pk_fma_f16 v61, v5, v66, v61
	v_pk_fma_f16 v68, v6, v65, v68
	v_pk_fma_f16 v62, v6, v66, v62
	v_pk_fma_f16 v69, v7, v65, v69
	v_pk_fma_f16 v63, v7, v66, v63
	v_pk_fma_f16 v70, v8, v65, v70
	v_pk_fma_f16 v64, v8, v66, v64
	s_waitcnt lgkmcnt(0)
	v_pk_fma_f16 v53, v9, v65, v53
	v_pk_fma_f16 v54, v9, v66, v54
	v_pk_fma_f16 v55, v10, v65, v55
	v_pk_fma_f16 v56, v10, v66, v56
	v_pk_fma_f16 v57, v11, v65, v57
	v_pk_fma_f16 v58, v11, v66, v58
	v_pk_fma_f16 v59, v12, v65, v59
	v_pk_fma_f16 v60, v12, v66, v60
	ds_read2_b64 v[5:8], v46 offset0:128 offset1:160
	ds_read2_b64 v[9:12], v46 offset0:192 offset1:224
	;; [unrolled: 44-line block ×6, first 2 shown]
	v_mul_u32_u24_sdwa v60, v2, s15 dst_sel:DWORD dst_unused:UNUSED_PAD src0_sel:WORD_0 src1_sel:DWORD
	v_mul_u32_u24_sdwa v2, v2, s15 dst_sel:DWORD dst_unused:UNUSED_PAD src0_sel:WORD_1 src1_sel:DWORD
	s_waitcnt lgkmcnt(1)
	v_pk_fma_f16 v65, v5, v60, v66
	v_pk_fma_f16 v61, v5, v2, v61
	;; [unrolled: 1-line block ×8, first 2 shown]
	s_waitcnt lgkmcnt(0)
	v_pk_fma_f16 v53, v9, v60, v53
	v_pk_fma_f16 v54, v9, v2, v54
	;; [unrolled: 1-line block ×8, first 2 shown]
	ds_read2_b64 v[5:8], v51 offset1:32
	ds_read2_b64 v[9:12], v51 offset0:64 offset1:96
	v_mul_u32_u24_sdwa v2, v3, s15 dst_sel:DWORD dst_unused:UNUSED_PAD src0_sel:WORD_0 src1_sel:DWORD
	v_mul_u32_u24_sdwa v3, v3, s15 dst_sel:DWORD dst_unused:UNUSED_PAD src0_sel:WORD_1 src1_sel:DWORD
	s_waitcnt lgkmcnt(1)
	v_pk_fma_f16 v65, v5, v2, v65
	v_pk_fma_f16 v66, v6, v2, v66
	;; [unrolled: 1-line block ×4, first 2 shown]
	s_waitcnt lgkmcnt(0)
	v_pk_fma_f16 v53, v9, v2, v53
	v_pk_fma_f16 v54, v9, v3, v54
	;; [unrolled: 1-line block ×8, first 2 shown]
	ds_read2_b64 v[9:12], v51 offset0:128 offset1:160
	ds_read2_b64 v[57:60], v51 offset0:192 offset1:224
	v_pk_fma_f16 v61, v5, v3, v61
	v_pk_fma_f16 v62, v6, v3, v62
	;; [unrolled: 1-line block ×4, first 2 shown]
	v_mul_u32_u24_sdwa v3, v4, s15 dst_sel:DWORD dst_unused:UNUSED_PAD src0_sel:WORD_0 src1_sel:DWORD
	v_mul_u32_u24_sdwa v4, v4, s15 dst_sel:DWORD dst_unused:UNUSED_PAD src0_sel:WORD_1 src1_sel:DWORD
	s_waitcnt lgkmcnt(1)
	v_pk_fma_f16 v6, v9, v4, v61
	s_waitcnt lgkmcnt(0)
	v_pk_fma_f16 v53, v57, v3, v53
	v_pk_fma_f16 v54, v57, v4, v54
	;; [unrolled: 1-line block ×8, first 2 shown]
	v_add_co_u32_e32 v61, vcc, s18, v39
	v_mov_b32_e32 v1, s19
	v_pk_fma_f16 v8, v10, v4, v62
	v_addc_co_u32_e32 v62, vcc, v40, v1, vcc
	v_pk_fma_f16 v5, v9, v3, v65
	v_pk_fma_f16 v7, v10, v3, v66
	;; [unrolled: 1-line block ×6, first 2 shown]
	s_barrier
	global_load_dwordx4 v[1:4], v[61:62], off
	s_or_b32 s18, s6, 64
	s_mul_hi_i32 s19, s18, s8
	s_mul_i32 s18, s18, s8
	s_lshl_b64 s[18:19], s[18:19], 2
	s_waitcnt vmcnt(0)
	ds_write_b128 v36, v[1:4]
	global_load_dwordx4 v[1:4], v[61:62], off offset:512
	s_waitcnt vmcnt(0)
	ds_write_b128 v37, v[1:4]
	s_waitcnt lgkmcnt(0)
	s_barrier
	ds_read2_b64 v[61:64], v38 offset1:32
	ds_read2_b64 v[65:68], v38 offset0:64 offset1:96
	ds_read_b128 v[69:72], v35 offset:192
	ds_read_b128 v[73:76], v35 offset:208
	;; [unrolled: 1-line block ×4, first 2 shown]
	s_waitcnt lgkmcnt(3)
	v_mul_u32_u24_sdwa v81, v69, s15 dst_sel:DWORD dst_unused:UNUSED_PAD src0_sel:WORD_0 src1_sel:DWORD
	v_mul_u32_u24_sdwa v69, v69, s15 dst_sel:DWORD dst_unused:UNUSED_PAD src0_sel:WORD_1 src1_sel:DWORD
	v_pk_fma_f16 v82, v61, v81, v5
	v_pk_fma_f16 v61, v61, v69, v6
	;; [unrolled: 1-line block ×8, first 2 shown]
	ds_read2_b64 v[5:8], v38 offset0:128 offset1:160
	ds_read2_b64 v[9:12], v38 offset0:192 offset1:224
	v_pk_fma_f16 v53, v65, v81, v53
	v_pk_fma_f16 v54, v65, v69, v54
	;; [unrolled: 1-line block ×8, first 2 shown]
	v_mul_u32_u24_sdwa v65, v70, s15 dst_sel:DWORD dst_unused:UNUSED_PAD src0_sel:WORD_0 src1_sel:DWORD
	v_mul_u32_u24_sdwa v66, v70, s15 dst_sel:DWORD dst_unused:UNUSED_PAD src0_sel:WORD_1 src1_sel:DWORD
	s_waitcnt lgkmcnt(1)
	v_pk_fma_f16 v67, v5, v65, v82
	v_pk_fma_f16 v61, v5, v66, v61
	v_pk_fma_f16 v68, v6, v65, v83
	v_pk_fma_f16 v62, v6, v66, v62
	v_pk_fma_f16 v69, v7, v65, v84
	v_pk_fma_f16 v63, v7, v66, v63
	v_pk_fma_f16 v70, v8, v65, v85
	v_pk_fma_f16 v64, v8, v66, v64
	s_waitcnt lgkmcnt(0)
	v_pk_fma_f16 v53, v9, v65, v53
	v_pk_fma_f16 v54, v9, v66, v54
	v_pk_fma_f16 v55, v10, v65, v55
	v_pk_fma_f16 v56, v10, v66, v56
	v_pk_fma_f16 v57, v11, v65, v57
	v_pk_fma_f16 v58, v11, v66, v58
	v_pk_fma_f16 v59, v12, v65, v59
	v_pk_fma_f16 v60, v12, v66, v60
	ds_read2_b64 v[5:8], v45 offset1:32
	ds_read2_b64 v[9:12], v45 offset0:64 offset1:96
	v_mul_u32_u24_sdwa v65, v71, s15 dst_sel:DWORD dst_unused:UNUSED_PAD src0_sel:WORD_0 src1_sel:DWORD
	v_mul_u32_u24_sdwa v66, v71, s15 dst_sel:DWORD dst_unused:UNUSED_PAD src0_sel:WORD_1 src1_sel:DWORD
	s_waitcnt lgkmcnt(1)
	v_pk_fma_f16 v67, v5, v65, v67
	v_pk_fma_f16 v61, v5, v66, v61
	v_pk_fma_f16 v68, v6, v65, v68
	v_pk_fma_f16 v62, v6, v66, v62
	v_pk_fma_f16 v69, v7, v65, v69
	v_pk_fma_f16 v63, v7, v66, v63
	v_pk_fma_f16 v70, v8, v65, v70
	v_pk_fma_f16 v64, v8, v66, v64
	s_waitcnt lgkmcnt(0)
	v_pk_fma_f16 v53, v9, v65, v53
	v_pk_fma_f16 v54, v9, v66, v54
	v_pk_fma_f16 v55, v10, v65, v55
	v_pk_fma_f16 v56, v10, v66, v56
	v_pk_fma_f16 v57, v11, v65, v57
	v_pk_fma_f16 v58, v11, v66, v58
	v_pk_fma_f16 v59, v12, v65, v59
	v_pk_fma_f16 v60, v12, v66, v60
	ds_read2_b64 v[5:8], v45 offset0:128 offset1:160
	ds_read2_b64 v[9:12], v45 offset0:192 offset1:224
	v_mul_u32_u24_sdwa v65, v72, s15 dst_sel:DWORD dst_unused:UNUSED_PAD src0_sel:WORD_0 src1_sel:DWORD
	v_mul_u32_u24_sdwa v66, v72, s15 dst_sel:DWORD dst_unused:UNUSED_PAD src0_sel:WORD_1 src1_sel:DWORD
	s_waitcnt lgkmcnt(1)
	v_pk_fma_f16 v67, v5, v65, v67
	v_pk_fma_f16 v61, v5, v66, v61
	v_pk_fma_f16 v68, v6, v65, v68
	v_pk_fma_f16 v62, v6, v66, v62
	v_pk_fma_f16 v69, v7, v65, v69
	v_pk_fma_f16 v63, v7, v66, v63
	v_pk_fma_f16 v70, v8, v65, v70
	v_pk_fma_f16 v64, v8, v66, v64
	s_waitcnt lgkmcnt(0)
	v_pk_fma_f16 v53, v9, v65, v53
	v_pk_fma_f16 v54, v9, v66, v54
	v_pk_fma_f16 v55, v10, v65, v55
	v_pk_fma_f16 v56, v10, v66, v56
	v_pk_fma_f16 v57, v11, v65, v57
	v_pk_fma_f16 v58, v11, v66, v58
	v_pk_fma_f16 v59, v12, v65, v59
	v_pk_fma_f16 v60, v12, v66, v60
	ds_read2_b64 v[5:8], v46 offset1:32
	ds_read2_b64 v[9:12], v46 offset0:64 offset1:96
	v_mul_u32_u24_sdwa v65, v73, s15 dst_sel:DWORD dst_unused:UNUSED_PAD src0_sel:WORD_0 src1_sel:DWORD
	v_mul_u32_u24_sdwa v66, v73, s15 dst_sel:DWORD dst_unused:UNUSED_PAD src0_sel:WORD_1 src1_sel:DWORD
	s_waitcnt lgkmcnt(1)
	v_pk_fma_f16 v67, v5, v65, v67
	v_pk_fma_f16 v61, v5, v66, v61
	v_pk_fma_f16 v68, v6, v65, v68
	v_pk_fma_f16 v62, v6, v66, v62
	v_pk_fma_f16 v69, v7, v65, v69
	v_pk_fma_f16 v63, v7, v66, v63
	v_pk_fma_f16 v70, v8, v65, v70
	v_pk_fma_f16 v64, v8, v66, v64
	s_waitcnt lgkmcnt(0)
	v_pk_fma_f16 v53, v9, v65, v53
	v_pk_fma_f16 v54, v9, v66, v54
	v_pk_fma_f16 v55, v10, v65, v55
	v_pk_fma_f16 v56, v10, v66, v56
	v_pk_fma_f16 v57, v11, v65, v57
	v_pk_fma_f16 v58, v11, v66, v58
	v_pk_fma_f16 v59, v12, v65, v59
	v_pk_fma_f16 v60, v12, v66, v60
	ds_read2_b64 v[5:8], v46 offset0:128 offset1:160
	ds_read2_b64 v[9:12], v46 offset0:192 offset1:224
	;; [unrolled: 44-line block ×6, first 2 shown]
	v_mul_u32_u24_sdwa v60, v2, s15 dst_sel:DWORD dst_unused:UNUSED_PAD src0_sel:WORD_0 src1_sel:DWORD
	v_mul_u32_u24_sdwa v2, v2, s15 dst_sel:DWORD dst_unused:UNUSED_PAD src0_sel:WORD_1 src1_sel:DWORD
	s_waitcnt lgkmcnt(1)
	v_pk_fma_f16 v65, v5, v60, v66
	v_pk_fma_f16 v61, v5, v2, v61
	v_pk_fma_f16 v66, v6, v60, v67
	v_pk_fma_f16 v62, v6, v2, v62
	v_pk_fma_f16 v67, v7, v60, v68
	v_pk_fma_f16 v63, v7, v2, v63
	v_pk_fma_f16 v68, v8, v60, v69
	v_pk_fma_f16 v64, v8, v2, v64
	s_waitcnt lgkmcnt(0)
	v_pk_fma_f16 v53, v9, v60, v53
	v_pk_fma_f16 v54, v9, v2, v54
	;; [unrolled: 1-line block ×8, first 2 shown]
	ds_read2_b64 v[5:8], v51 offset1:32
	ds_read2_b64 v[9:12], v51 offset0:64 offset1:96
	v_mul_u32_u24_sdwa v2, v3, s15 dst_sel:DWORD dst_unused:UNUSED_PAD src0_sel:WORD_0 src1_sel:DWORD
	v_mul_u32_u24_sdwa v3, v3, s15 dst_sel:DWORD dst_unused:UNUSED_PAD src0_sel:WORD_1 src1_sel:DWORD
	s_waitcnt lgkmcnt(1)
	v_pk_fma_f16 v65, v5, v2, v65
	v_pk_fma_f16 v66, v6, v2, v66
	;; [unrolled: 1-line block ×4, first 2 shown]
	s_waitcnt lgkmcnt(0)
	v_pk_fma_f16 v53, v9, v2, v53
	v_pk_fma_f16 v54, v9, v3, v54
	;; [unrolled: 1-line block ×8, first 2 shown]
	ds_read2_b64 v[9:12], v51 offset0:128 offset1:160
	ds_read2_b64 v[57:60], v51 offset0:192 offset1:224
	v_pk_fma_f16 v61, v5, v3, v61
	v_pk_fma_f16 v62, v6, v3, v62
	;; [unrolled: 1-line block ×4, first 2 shown]
	v_mul_u32_u24_sdwa v3, v4, s15 dst_sel:DWORD dst_unused:UNUSED_PAD src0_sel:WORD_0 src1_sel:DWORD
	v_mul_u32_u24_sdwa v4, v4, s15 dst_sel:DWORD dst_unused:UNUSED_PAD src0_sel:WORD_1 src1_sel:DWORD
	s_waitcnt lgkmcnt(1)
	v_pk_fma_f16 v6, v9, v4, v61
	s_waitcnt lgkmcnt(0)
	v_pk_fma_f16 v53, v57, v3, v53
	v_pk_fma_f16 v54, v57, v4, v54
	;; [unrolled: 1-line block ×8, first 2 shown]
	v_add_co_u32_e32 v61, vcc, s18, v39
	v_mov_b32_e32 v1, s19
	v_pk_fma_f16 v8, v10, v4, v62
	v_addc_co_u32_e32 v62, vcc, v40, v1, vcc
	v_pk_fma_f16 v5, v9, v3, v65
	v_pk_fma_f16 v7, v10, v3, v66
	;; [unrolled: 1-line block ×6, first 2 shown]
	s_barrier
	global_load_dwordx4 v[1:4], v[61:62], off
	s_or_b32 s18, s6, 0x50
	s_mul_hi_i32 s19, s18, s8
	s_mul_i32 s18, s18, s8
	s_lshl_b64 s[18:19], s[18:19], 2
	s_waitcnt vmcnt(0)
	ds_write_b128 v36, v[1:4]
	global_load_dwordx4 v[1:4], v[61:62], off offset:512
	s_waitcnt vmcnt(0)
	ds_write_b128 v37, v[1:4]
	s_waitcnt lgkmcnt(0)
	s_barrier
	ds_read2_b64 v[61:64], v38 offset1:32
	ds_read2_b64 v[65:68], v38 offset0:64 offset1:96
	ds_read_b128 v[69:72], v35 offset:256
	ds_read_b128 v[73:76], v35 offset:272
	;; [unrolled: 1-line block ×4, first 2 shown]
	s_waitcnt lgkmcnt(3)
	v_mul_u32_u24_sdwa v81, v69, s15 dst_sel:DWORD dst_unused:UNUSED_PAD src0_sel:WORD_0 src1_sel:DWORD
	v_mul_u32_u24_sdwa v69, v69, s15 dst_sel:DWORD dst_unused:UNUSED_PAD src0_sel:WORD_1 src1_sel:DWORD
	v_pk_fma_f16 v82, v61, v81, v5
	v_pk_fma_f16 v61, v61, v69, v6
	;; [unrolled: 1-line block ×8, first 2 shown]
	ds_read2_b64 v[5:8], v38 offset0:128 offset1:160
	ds_read2_b64 v[9:12], v38 offset0:192 offset1:224
	v_pk_fma_f16 v53, v65, v81, v53
	v_pk_fma_f16 v54, v65, v69, v54
	;; [unrolled: 1-line block ×8, first 2 shown]
	v_mul_u32_u24_sdwa v65, v70, s15 dst_sel:DWORD dst_unused:UNUSED_PAD src0_sel:WORD_0 src1_sel:DWORD
	v_mul_u32_u24_sdwa v66, v70, s15 dst_sel:DWORD dst_unused:UNUSED_PAD src0_sel:WORD_1 src1_sel:DWORD
	s_waitcnt lgkmcnt(1)
	v_pk_fma_f16 v67, v5, v65, v82
	v_pk_fma_f16 v61, v5, v66, v61
	v_pk_fma_f16 v68, v6, v65, v83
	v_pk_fma_f16 v62, v6, v66, v62
	v_pk_fma_f16 v69, v7, v65, v84
	v_pk_fma_f16 v63, v7, v66, v63
	v_pk_fma_f16 v70, v8, v65, v85
	v_pk_fma_f16 v64, v8, v66, v64
	s_waitcnt lgkmcnt(0)
	v_pk_fma_f16 v53, v9, v65, v53
	v_pk_fma_f16 v54, v9, v66, v54
	v_pk_fma_f16 v55, v10, v65, v55
	v_pk_fma_f16 v56, v10, v66, v56
	v_pk_fma_f16 v57, v11, v65, v57
	v_pk_fma_f16 v58, v11, v66, v58
	v_pk_fma_f16 v59, v12, v65, v59
	v_pk_fma_f16 v60, v12, v66, v60
	ds_read2_b64 v[5:8], v45 offset1:32
	ds_read2_b64 v[9:12], v45 offset0:64 offset1:96
	v_mul_u32_u24_sdwa v65, v71, s15 dst_sel:DWORD dst_unused:UNUSED_PAD src0_sel:WORD_0 src1_sel:DWORD
	v_mul_u32_u24_sdwa v66, v71, s15 dst_sel:DWORD dst_unused:UNUSED_PAD src0_sel:WORD_1 src1_sel:DWORD
	s_waitcnt lgkmcnt(1)
	v_pk_fma_f16 v67, v5, v65, v67
	v_pk_fma_f16 v61, v5, v66, v61
	v_pk_fma_f16 v68, v6, v65, v68
	v_pk_fma_f16 v62, v6, v66, v62
	v_pk_fma_f16 v69, v7, v65, v69
	v_pk_fma_f16 v63, v7, v66, v63
	v_pk_fma_f16 v70, v8, v65, v70
	v_pk_fma_f16 v64, v8, v66, v64
	s_waitcnt lgkmcnt(0)
	v_pk_fma_f16 v53, v9, v65, v53
	v_pk_fma_f16 v54, v9, v66, v54
	v_pk_fma_f16 v55, v10, v65, v55
	v_pk_fma_f16 v56, v10, v66, v56
	v_pk_fma_f16 v57, v11, v65, v57
	v_pk_fma_f16 v58, v11, v66, v58
	v_pk_fma_f16 v59, v12, v65, v59
	v_pk_fma_f16 v60, v12, v66, v60
	ds_read2_b64 v[5:8], v45 offset0:128 offset1:160
	ds_read2_b64 v[9:12], v45 offset0:192 offset1:224
	v_mul_u32_u24_sdwa v65, v72, s15 dst_sel:DWORD dst_unused:UNUSED_PAD src0_sel:WORD_0 src1_sel:DWORD
	v_mul_u32_u24_sdwa v66, v72, s15 dst_sel:DWORD dst_unused:UNUSED_PAD src0_sel:WORD_1 src1_sel:DWORD
	s_waitcnt lgkmcnt(1)
	v_pk_fma_f16 v67, v5, v65, v67
	v_pk_fma_f16 v61, v5, v66, v61
	v_pk_fma_f16 v68, v6, v65, v68
	v_pk_fma_f16 v62, v6, v66, v62
	v_pk_fma_f16 v69, v7, v65, v69
	v_pk_fma_f16 v63, v7, v66, v63
	v_pk_fma_f16 v70, v8, v65, v70
	v_pk_fma_f16 v64, v8, v66, v64
	s_waitcnt lgkmcnt(0)
	v_pk_fma_f16 v53, v9, v65, v53
	v_pk_fma_f16 v54, v9, v66, v54
	v_pk_fma_f16 v55, v10, v65, v55
	v_pk_fma_f16 v56, v10, v66, v56
	v_pk_fma_f16 v57, v11, v65, v57
	v_pk_fma_f16 v58, v11, v66, v58
	v_pk_fma_f16 v59, v12, v65, v59
	v_pk_fma_f16 v60, v12, v66, v60
	ds_read2_b64 v[5:8], v46 offset1:32
	ds_read2_b64 v[9:12], v46 offset0:64 offset1:96
	v_mul_u32_u24_sdwa v65, v73, s15 dst_sel:DWORD dst_unused:UNUSED_PAD src0_sel:WORD_0 src1_sel:DWORD
	v_mul_u32_u24_sdwa v66, v73, s15 dst_sel:DWORD dst_unused:UNUSED_PAD src0_sel:WORD_1 src1_sel:DWORD
	s_waitcnt lgkmcnt(1)
	v_pk_fma_f16 v67, v5, v65, v67
	v_pk_fma_f16 v61, v5, v66, v61
	v_pk_fma_f16 v68, v6, v65, v68
	v_pk_fma_f16 v62, v6, v66, v62
	v_pk_fma_f16 v69, v7, v65, v69
	v_pk_fma_f16 v63, v7, v66, v63
	v_pk_fma_f16 v70, v8, v65, v70
	v_pk_fma_f16 v64, v8, v66, v64
	s_waitcnt lgkmcnt(0)
	v_pk_fma_f16 v53, v9, v65, v53
	v_pk_fma_f16 v54, v9, v66, v54
	v_pk_fma_f16 v55, v10, v65, v55
	v_pk_fma_f16 v56, v10, v66, v56
	v_pk_fma_f16 v57, v11, v65, v57
	v_pk_fma_f16 v58, v11, v66, v58
	v_pk_fma_f16 v59, v12, v65, v59
	v_pk_fma_f16 v60, v12, v66, v60
	ds_read2_b64 v[5:8], v46 offset0:128 offset1:160
	ds_read2_b64 v[9:12], v46 offset0:192 offset1:224
	;; [unrolled: 44-line block ×6, first 2 shown]
	v_mul_u32_u24_sdwa v60, v2, s15 dst_sel:DWORD dst_unused:UNUSED_PAD src0_sel:WORD_0 src1_sel:DWORD
	v_mul_u32_u24_sdwa v2, v2, s15 dst_sel:DWORD dst_unused:UNUSED_PAD src0_sel:WORD_1 src1_sel:DWORD
	s_waitcnt lgkmcnt(1)
	v_pk_fma_f16 v65, v5, v60, v66
	v_pk_fma_f16 v61, v5, v2, v61
	;; [unrolled: 1-line block ×8, first 2 shown]
	s_waitcnt lgkmcnt(0)
	v_pk_fma_f16 v53, v9, v60, v53
	v_pk_fma_f16 v54, v9, v2, v54
	;; [unrolled: 1-line block ×8, first 2 shown]
	ds_read2_b64 v[5:8], v51 offset1:32
	ds_read2_b64 v[9:12], v51 offset0:64 offset1:96
	v_mul_u32_u24_sdwa v2, v3, s15 dst_sel:DWORD dst_unused:UNUSED_PAD src0_sel:WORD_0 src1_sel:DWORD
	v_mul_u32_u24_sdwa v3, v3, s15 dst_sel:DWORD dst_unused:UNUSED_PAD src0_sel:WORD_1 src1_sel:DWORD
	s_waitcnt lgkmcnt(1)
	v_pk_fma_f16 v65, v5, v2, v65
	v_pk_fma_f16 v66, v6, v2, v66
	;; [unrolled: 1-line block ×4, first 2 shown]
	s_waitcnt lgkmcnt(0)
	v_pk_fma_f16 v53, v9, v2, v53
	v_pk_fma_f16 v54, v9, v3, v54
	;; [unrolled: 1-line block ×8, first 2 shown]
	ds_read2_b64 v[9:12], v51 offset0:128 offset1:160
	ds_read2_b64 v[57:60], v51 offset0:192 offset1:224
	v_pk_fma_f16 v61, v5, v3, v61
	v_pk_fma_f16 v62, v6, v3, v62
	;; [unrolled: 1-line block ×4, first 2 shown]
	v_mul_u32_u24_sdwa v3, v4, s15 dst_sel:DWORD dst_unused:UNUSED_PAD src0_sel:WORD_0 src1_sel:DWORD
	v_mul_u32_u24_sdwa v4, v4, s15 dst_sel:DWORD dst_unused:UNUSED_PAD src0_sel:WORD_1 src1_sel:DWORD
	s_waitcnt lgkmcnt(1)
	v_pk_fma_f16 v6, v9, v4, v61
	s_waitcnt lgkmcnt(0)
	v_pk_fma_f16 v53, v57, v3, v53
	v_pk_fma_f16 v54, v57, v4, v54
	;; [unrolled: 1-line block ×8, first 2 shown]
	v_add_co_u32_e32 v61, vcc, s18, v39
	v_mov_b32_e32 v1, s19
	v_pk_fma_f16 v8, v10, v4, v62
	v_addc_co_u32_e32 v62, vcc, v40, v1, vcc
	v_pk_fma_f16 v5, v9, v3, v65
	v_pk_fma_f16 v7, v10, v3, v66
	;; [unrolled: 1-line block ×6, first 2 shown]
	s_barrier
	global_load_dwordx4 v[1:4], v[61:62], off
	s_or_b32 s18, s6, 0x60
	s_mul_hi_i32 s19, s18, s8
	s_mul_i32 s18, s18, s8
	s_lshl_b64 s[18:19], s[18:19], 2
	s_waitcnt vmcnt(0)
	ds_write_b128 v36, v[1:4]
	global_load_dwordx4 v[1:4], v[61:62], off offset:512
	s_waitcnt vmcnt(0)
	ds_write_b128 v37, v[1:4]
	s_waitcnt lgkmcnt(0)
	s_barrier
	ds_read2_b64 v[61:64], v38 offset1:32
	ds_read2_b64 v[65:68], v38 offset0:64 offset1:96
	ds_read_b128 v[69:72], v35 offset:320
	ds_read_b128 v[73:76], v35 offset:336
	;; [unrolled: 1-line block ×4, first 2 shown]
	s_waitcnt lgkmcnt(3)
	v_mul_u32_u24_sdwa v81, v69, s15 dst_sel:DWORD dst_unused:UNUSED_PAD src0_sel:WORD_0 src1_sel:DWORD
	v_mul_u32_u24_sdwa v69, v69, s15 dst_sel:DWORD dst_unused:UNUSED_PAD src0_sel:WORD_1 src1_sel:DWORD
	v_pk_fma_f16 v82, v61, v81, v5
	v_pk_fma_f16 v61, v61, v69, v6
	;; [unrolled: 1-line block ×8, first 2 shown]
	ds_read2_b64 v[5:8], v38 offset0:128 offset1:160
	ds_read2_b64 v[9:12], v38 offset0:192 offset1:224
	v_pk_fma_f16 v53, v65, v81, v53
	v_pk_fma_f16 v54, v65, v69, v54
	;; [unrolled: 1-line block ×8, first 2 shown]
	v_mul_u32_u24_sdwa v65, v70, s15 dst_sel:DWORD dst_unused:UNUSED_PAD src0_sel:WORD_0 src1_sel:DWORD
	v_mul_u32_u24_sdwa v66, v70, s15 dst_sel:DWORD dst_unused:UNUSED_PAD src0_sel:WORD_1 src1_sel:DWORD
	s_waitcnt lgkmcnt(1)
	v_pk_fma_f16 v67, v5, v65, v82
	v_pk_fma_f16 v61, v5, v66, v61
	v_pk_fma_f16 v68, v6, v65, v83
	v_pk_fma_f16 v62, v6, v66, v62
	v_pk_fma_f16 v69, v7, v65, v84
	v_pk_fma_f16 v63, v7, v66, v63
	v_pk_fma_f16 v70, v8, v65, v85
	v_pk_fma_f16 v64, v8, v66, v64
	s_waitcnt lgkmcnt(0)
	v_pk_fma_f16 v53, v9, v65, v53
	v_pk_fma_f16 v54, v9, v66, v54
	v_pk_fma_f16 v55, v10, v65, v55
	v_pk_fma_f16 v56, v10, v66, v56
	v_pk_fma_f16 v57, v11, v65, v57
	v_pk_fma_f16 v58, v11, v66, v58
	v_pk_fma_f16 v59, v12, v65, v59
	v_pk_fma_f16 v60, v12, v66, v60
	ds_read2_b64 v[5:8], v45 offset1:32
	ds_read2_b64 v[9:12], v45 offset0:64 offset1:96
	v_mul_u32_u24_sdwa v65, v71, s15 dst_sel:DWORD dst_unused:UNUSED_PAD src0_sel:WORD_0 src1_sel:DWORD
	v_mul_u32_u24_sdwa v66, v71, s15 dst_sel:DWORD dst_unused:UNUSED_PAD src0_sel:WORD_1 src1_sel:DWORD
	s_waitcnt lgkmcnt(1)
	v_pk_fma_f16 v67, v5, v65, v67
	v_pk_fma_f16 v61, v5, v66, v61
	v_pk_fma_f16 v68, v6, v65, v68
	v_pk_fma_f16 v62, v6, v66, v62
	v_pk_fma_f16 v69, v7, v65, v69
	v_pk_fma_f16 v63, v7, v66, v63
	v_pk_fma_f16 v70, v8, v65, v70
	v_pk_fma_f16 v64, v8, v66, v64
	s_waitcnt lgkmcnt(0)
	v_pk_fma_f16 v53, v9, v65, v53
	v_pk_fma_f16 v54, v9, v66, v54
	v_pk_fma_f16 v55, v10, v65, v55
	v_pk_fma_f16 v56, v10, v66, v56
	v_pk_fma_f16 v57, v11, v65, v57
	v_pk_fma_f16 v58, v11, v66, v58
	v_pk_fma_f16 v59, v12, v65, v59
	v_pk_fma_f16 v60, v12, v66, v60
	ds_read2_b64 v[5:8], v45 offset0:128 offset1:160
	ds_read2_b64 v[9:12], v45 offset0:192 offset1:224
	v_mul_u32_u24_sdwa v65, v72, s15 dst_sel:DWORD dst_unused:UNUSED_PAD src0_sel:WORD_0 src1_sel:DWORD
	v_mul_u32_u24_sdwa v66, v72, s15 dst_sel:DWORD dst_unused:UNUSED_PAD src0_sel:WORD_1 src1_sel:DWORD
	s_waitcnt lgkmcnt(1)
	v_pk_fma_f16 v67, v5, v65, v67
	v_pk_fma_f16 v61, v5, v66, v61
	v_pk_fma_f16 v68, v6, v65, v68
	v_pk_fma_f16 v62, v6, v66, v62
	v_pk_fma_f16 v69, v7, v65, v69
	v_pk_fma_f16 v63, v7, v66, v63
	v_pk_fma_f16 v70, v8, v65, v70
	v_pk_fma_f16 v64, v8, v66, v64
	s_waitcnt lgkmcnt(0)
	v_pk_fma_f16 v53, v9, v65, v53
	v_pk_fma_f16 v54, v9, v66, v54
	v_pk_fma_f16 v55, v10, v65, v55
	v_pk_fma_f16 v56, v10, v66, v56
	v_pk_fma_f16 v57, v11, v65, v57
	v_pk_fma_f16 v58, v11, v66, v58
	v_pk_fma_f16 v59, v12, v65, v59
	v_pk_fma_f16 v60, v12, v66, v60
	ds_read2_b64 v[5:8], v46 offset1:32
	ds_read2_b64 v[9:12], v46 offset0:64 offset1:96
	v_mul_u32_u24_sdwa v65, v73, s15 dst_sel:DWORD dst_unused:UNUSED_PAD src0_sel:WORD_0 src1_sel:DWORD
	v_mul_u32_u24_sdwa v66, v73, s15 dst_sel:DWORD dst_unused:UNUSED_PAD src0_sel:WORD_1 src1_sel:DWORD
	s_waitcnt lgkmcnt(1)
	v_pk_fma_f16 v67, v5, v65, v67
	v_pk_fma_f16 v61, v5, v66, v61
	v_pk_fma_f16 v68, v6, v65, v68
	v_pk_fma_f16 v62, v6, v66, v62
	v_pk_fma_f16 v69, v7, v65, v69
	v_pk_fma_f16 v63, v7, v66, v63
	v_pk_fma_f16 v70, v8, v65, v70
	v_pk_fma_f16 v64, v8, v66, v64
	s_waitcnt lgkmcnt(0)
	v_pk_fma_f16 v53, v9, v65, v53
	v_pk_fma_f16 v54, v9, v66, v54
	v_pk_fma_f16 v55, v10, v65, v55
	v_pk_fma_f16 v56, v10, v66, v56
	v_pk_fma_f16 v57, v11, v65, v57
	v_pk_fma_f16 v58, v11, v66, v58
	v_pk_fma_f16 v59, v12, v65, v59
	v_pk_fma_f16 v60, v12, v66, v60
	ds_read2_b64 v[5:8], v46 offset0:128 offset1:160
	ds_read2_b64 v[9:12], v46 offset0:192 offset1:224
	;; [unrolled: 44-line block ×6, first 2 shown]
	v_mul_u32_u24_sdwa v60, v2, s15 dst_sel:DWORD dst_unused:UNUSED_PAD src0_sel:WORD_0 src1_sel:DWORD
	v_mul_u32_u24_sdwa v2, v2, s15 dst_sel:DWORD dst_unused:UNUSED_PAD src0_sel:WORD_1 src1_sel:DWORD
	s_waitcnt lgkmcnt(1)
	v_pk_fma_f16 v65, v5, v60, v66
	v_pk_fma_f16 v61, v5, v2, v61
	;; [unrolled: 1-line block ×8, first 2 shown]
	s_waitcnt lgkmcnt(0)
	v_pk_fma_f16 v53, v9, v60, v53
	v_pk_fma_f16 v54, v9, v2, v54
	;; [unrolled: 1-line block ×8, first 2 shown]
	ds_read2_b64 v[5:8], v51 offset1:32
	ds_read2_b64 v[9:12], v51 offset0:64 offset1:96
	v_mul_u32_u24_sdwa v2, v3, s15 dst_sel:DWORD dst_unused:UNUSED_PAD src0_sel:WORD_0 src1_sel:DWORD
	v_mul_u32_u24_sdwa v3, v3, s15 dst_sel:DWORD dst_unused:UNUSED_PAD src0_sel:WORD_1 src1_sel:DWORD
	s_waitcnt lgkmcnt(1)
	v_pk_fma_f16 v65, v5, v2, v65
	v_pk_fma_f16 v66, v6, v2, v66
	;; [unrolled: 1-line block ×4, first 2 shown]
	s_waitcnt lgkmcnt(0)
	v_pk_fma_f16 v53, v9, v2, v53
	v_pk_fma_f16 v54, v9, v3, v54
	;; [unrolled: 1-line block ×8, first 2 shown]
	ds_read2_b64 v[9:12], v51 offset0:128 offset1:160
	ds_read2_b64 v[57:60], v51 offset0:192 offset1:224
	v_pk_fma_f16 v61, v5, v3, v61
	v_pk_fma_f16 v62, v6, v3, v62
	;; [unrolled: 1-line block ×4, first 2 shown]
	v_mul_u32_u24_sdwa v3, v4, s15 dst_sel:DWORD dst_unused:UNUSED_PAD src0_sel:WORD_0 src1_sel:DWORD
	v_mul_u32_u24_sdwa v4, v4, s15 dst_sel:DWORD dst_unused:UNUSED_PAD src0_sel:WORD_1 src1_sel:DWORD
	s_waitcnt lgkmcnt(1)
	v_pk_fma_f16 v6, v9, v4, v61
	s_waitcnt lgkmcnt(0)
	v_pk_fma_f16 v53, v57, v3, v53
	v_pk_fma_f16 v54, v57, v4, v54
	;; [unrolled: 1-line block ×8, first 2 shown]
	v_add_co_u32_e32 v61, vcc, s18, v39
	v_mov_b32_e32 v1, s19
	v_pk_fma_f16 v8, v10, v4, v62
	v_addc_co_u32_e32 v62, vcc, v40, v1, vcc
	v_pk_fma_f16 v5, v9, v3, v65
	v_pk_fma_f16 v7, v10, v3, v66
	;; [unrolled: 1-line block ×6, first 2 shown]
	s_barrier
	global_load_dwordx4 v[1:4], v[61:62], off
	s_or_b32 s18, s6, 0x70
	s_mul_hi_i32 s19, s18, s8
	s_mul_i32 s18, s18, s8
	s_lshl_b64 s[18:19], s[18:19], 2
	s_waitcnt vmcnt(0)
	ds_write_b128 v36, v[1:4]
	global_load_dwordx4 v[1:4], v[61:62], off offset:512
	s_waitcnt vmcnt(0)
	ds_write_b128 v37, v[1:4]
	s_waitcnt lgkmcnt(0)
	s_barrier
	ds_read2_b64 v[61:64], v38 offset1:32
	ds_read2_b64 v[65:68], v38 offset0:64 offset1:96
	ds_read_b128 v[69:72], v35 offset:384
	ds_read_b128 v[73:76], v35 offset:400
	;; [unrolled: 1-line block ×4, first 2 shown]
	s_waitcnt lgkmcnt(3)
	v_mul_u32_u24_sdwa v81, v69, s15 dst_sel:DWORD dst_unused:UNUSED_PAD src0_sel:WORD_0 src1_sel:DWORD
	v_mul_u32_u24_sdwa v69, v69, s15 dst_sel:DWORD dst_unused:UNUSED_PAD src0_sel:WORD_1 src1_sel:DWORD
	v_pk_fma_f16 v82, v61, v81, v5
	v_pk_fma_f16 v61, v61, v69, v6
	;; [unrolled: 1-line block ×8, first 2 shown]
	ds_read2_b64 v[5:8], v38 offset0:128 offset1:160
	ds_read2_b64 v[9:12], v38 offset0:192 offset1:224
	v_pk_fma_f16 v53, v65, v81, v53
	v_pk_fma_f16 v54, v65, v69, v54
	;; [unrolled: 1-line block ×8, first 2 shown]
	v_mul_u32_u24_sdwa v65, v70, s15 dst_sel:DWORD dst_unused:UNUSED_PAD src0_sel:WORD_0 src1_sel:DWORD
	v_mul_u32_u24_sdwa v66, v70, s15 dst_sel:DWORD dst_unused:UNUSED_PAD src0_sel:WORD_1 src1_sel:DWORD
	s_waitcnt lgkmcnt(1)
	v_pk_fma_f16 v67, v5, v65, v82
	v_pk_fma_f16 v61, v5, v66, v61
	v_pk_fma_f16 v68, v6, v65, v83
	v_pk_fma_f16 v62, v6, v66, v62
	v_pk_fma_f16 v69, v7, v65, v84
	v_pk_fma_f16 v63, v7, v66, v63
	v_pk_fma_f16 v70, v8, v65, v85
	v_pk_fma_f16 v64, v8, v66, v64
	s_waitcnt lgkmcnt(0)
	v_pk_fma_f16 v53, v9, v65, v53
	v_pk_fma_f16 v54, v9, v66, v54
	v_pk_fma_f16 v55, v10, v65, v55
	v_pk_fma_f16 v56, v10, v66, v56
	v_pk_fma_f16 v57, v11, v65, v57
	v_pk_fma_f16 v58, v11, v66, v58
	v_pk_fma_f16 v59, v12, v65, v59
	v_pk_fma_f16 v60, v12, v66, v60
	ds_read2_b64 v[5:8], v45 offset1:32
	ds_read2_b64 v[9:12], v45 offset0:64 offset1:96
	v_mul_u32_u24_sdwa v65, v71, s15 dst_sel:DWORD dst_unused:UNUSED_PAD src0_sel:WORD_0 src1_sel:DWORD
	v_mul_u32_u24_sdwa v66, v71, s15 dst_sel:DWORD dst_unused:UNUSED_PAD src0_sel:WORD_1 src1_sel:DWORD
	s_waitcnt lgkmcnt(1)
	v_pk_fma_f16 v67, v5, v65, v67
	v_pk_fma_f16 v61, v5, v66, v61
	v_pk_fma_f16 v68, v6, v65, v68
	v_pk_fma_f16 v62, v6, v66, v62
	v_pk_fma_f16 v69, v7, v65, v69
	v_pk_fma_f16 v63, v7, v66, v63
	v_pk_fma_f16 v70, v8, v65, v70
	v_pk_fma_f16 v64, v8, v66, v64
	s_waitcnt lgkmcnt(0)
	v_pk_fma_f16 v53, v9, v65, v53
	v_pk_fma_f16 v54, v9, v66, v54
	v_pk_fma_f16 v55, v10, v65, v55
	v_pk_fma_f16 v56, v10, v66, v56
	v_pk_fma_f16 v57, v11, v65, v57
	v_pk_fma_f16 v58, v11, v66, v58
	v_pk_fma_f16 v59, v12, v65, v59
	v_pk_fma_f16 v60, v12, v66, v60
	ds_read2_b64 v[5:8], v45 offset0:128 offset1:160
	ds_read2_b64 v[9:12], v45 offset0:192 offset1:224
	v_mul_u32_u24_sdwa v65, v72, s15 dst_sel:DWORD dst_unused:UNUSED_PAD src0_sel:WORD_0 src1_sel:DWORD
	v_mul_u32_u24_sdwa v66, v72, s15 dst_sel:DWORD dst_unused:UNUSED_PAD src0_sel:WORD_1 src1_sel:DWORD
	s_waitcnt lgkmcnt(1)
	v_pk_fma_f16 v67, v5, v65, v67
	v_pk_fma_f16 v61, v5, v66, v61
	v_pk_fma_f16 v68, v6, v65, v68
	v_pk_fma_f16 v62, v6, v66, v62
	v_pk_fma_f16 v69, v7, v65, v69
	v_pk_fma_f16 v63, v7, v66, v63
	v_pk_fma_f16 v70, v8, v65, v70
	v_pk_fma_f16 v64, v8, v66, v64
	s_waitcnt lgkmcnt(0)
	v_pk_fma_f16 v53, v9, v65, v53
	v_pk_fma_f16 v54, v9, v66, v54
	v_pk_fma_f16 v55, v10, v65, v55
	v_pk_fma_f16 v56, v10, v66, v56
	v_pk_fma_f16 v57, v11, v65, v57
	v_pk_fma_f16 v58, v11, v66, v58
	v_pk_fma_f16 v59, v12, v65, v59
	v_pk_fma_f16 v60, v12, v66, v60
	ds_read2_b64 v[5:8], v46 offset1:32
	ds_read2_b64 v[9:12], v46 offset0:64 offset1:96
	v_mul_u32_u24_sdwa v65, v73, s15 dst_sel:DWORD dst_unused:UNUSED_PAD src0_sel:WORD_0 src1_sel:DWORD
	v_mul_u32_u24_sdwa v66, v73, s15 dst_sel:DWORD dst_unused:UNUSED_PAD src0_sel:WORD_1 src1_sel:DWORD
	s_waitcnt lgkmcnt(1)
	v_pk_fma_f16 v67, v5, v65, v67
	v_pk_fma_f16 v61, v5, v66, v61
	v_pk_fma_f16 v68, v6, v65, v68
	v_pk_fma_f16 v62, v6, v66, v62
	v_pk_fma_f16 v69, v7, v65, v69
	v_pk_fma_f16 v63, v7, v66, v63
	v_pk_fma_f16 v70, v8, v65, v70
	v_pk_fma_f16 v64, v8, v66, v64
	s_waitcnt lgkmcnt(0)
	v_pk_fma_f16 v53, v9, v65, v53
	v_pk_fma_f16 v54, v9, v66, v54
	v_pk_fma_f16 v55, v10, v65, v55
	v_pk_fma_f16 v56, v10, v66, v56
	v_pk_fma_f16 v57, v11, v65, v57
	v_pk_fma_f16 v58, v11, v66, v58
	v_pk_fma_f16 v59, v12, v65, v59
	v_pk_fma_f16 v60, v12, v66, v60
	ds_read2_b64 v[5:8], v46 offset0:128 offset1:160
	ds_read2_b64 v[9:12], v46 offset0:192 offset1:224
	;; [unrolled: 44-line block ×7, first 2 shown]
	v_mul_u32_u24_sdwa v3, v4, s15 dst_sel:DWORD dst_unused:UNUSED_PAD src0_sel:WORD_0 src1_sel:DWORD
	v_mul_u32_u24_sdwa v4, v4, s15 dst_sel:DWORD dst_unused:UNUSED_PAD src0_sel:WORD_1 src1_sel:DWORD
	s_waitcnt lgkmcnt(0)
	v_pk_fma_f16 v54, v5, v4, v61
	v_pk_fma_f16 v59, v8, v3, v67
	;; [unrolled: 1-line block ×5, first 2 shown]
	v_add_co_u32_e32 v1, vcc, s18, v39
	v_mov_b32_e32 v2, s19
	v_addc_co_u32_e32 v2, vcc, v40, v2, vcc
	v_pk_fma_f16 v53, v5, v3, v60
	v_pk_fma_f16 v55, v6, v3, v65
	;; [unrolled: 1-line block ×11, first 2 shown]
	s_barrier
	global_load_dwordx4 v[3:6], v[1:2], off
	s_waitcnt vmcnt(0)
	ds_write_b128 v36, v[3:6]
	global_load_dwordx4 v[1:4], v[1:2], off offset:512
	s_waitcnt vmcnt(0)
	ds_write_b128 v37, v[1:4]
	s_waitcnt lgkmcnt(0)
	s_barrier
	ds_read2_b64 v[69:72], v38 offset1:32
	ds_read2_b64 v[73:76], v38 offset0:64 offset1:96
	ds_read_b128 v[77:80], v35 offset:448
	ds_read_b128 v[9:12], v35 offset:464
	;; [unrolled: 1-line block ×4, first 2 shown]
	s_waitcnt lgkmcnt(3)
	v_mul_u32_u24_sdwa v81, v77, s15 dst_sel:DWORD dst_unused:UNUSED_PAD src0_sel:WORD_0 src1_sel:DWORD
	v_mul_u32_u24_sdwa v77, v77, s15 dst_sel:DWORD dst_unused:UNUSED_PAD src0_sel:WORD_1 src1_sel:DWORD
	v_pk_fma_f16 v82, v69, v81, v53
	v_pk_fma_f16 v69, v69, v77, v54
	v_pk_fma_f16 v83, v70, v81, v55
	v_pk_fma_f16 v70, v70, v77, v56
	v_pk_fma_f16 v84, v71, v81, v57
	v_pk_fma_f16 v71, v71, v77, v58
	v_pk_fma_f16 v85, v72, v81, v59
	v_pk_fma_f16 v72, v72, v77, v60
	ds_read2_b64 v[53:56], v38 offset0:128 offset1:160
	ds_read2_b64 v[57:60], v38 offset0:192 offset1:224
	v_pk_fma_f16 v61, v73, v81, v61
	v_pk_fma_f16 v62, v73, v77, v62
	;; [unrolled: 1-line block ×8, first 2 shown]
	v_mul_u32_u24_sdwa v73, v78, s15 dst_sel:DWORD dst_unused:UNUSED_PAD src0_sel:WORD_0 src1_sel:DWORD
	v_mul_u32_u24_sdwa v74, v78, s15 dst_sel:DWORD dst_unused:UNUSED_PAD src0_sel:WORD_1 src1_sel:DWORD
	s_waitcnt lgkmcnt(1)
	v_pk_fma_f16 v75, v53, v73, v82
	v_pk_fma_f16 v69, v53, v74, v69
	v_pk_fma_f16 v76, v54, v73, v83
	v_pk_fma_f16 v70, v54, v74, v70
	v_pk_fma_f16 v77, v55, v73, v84
	v_pk_fma_f16 v71, v55, v74, v71
	v_pk_fma_f16 v78, v56, v73, v85
	v_pk_fma_f16 v72, v56, v74, v72
	s_waitcnt lgkmcnt(0)
	v_pk_fma_f16 v61, v57, v73, v61
	v_pk_fma_f16 v62, v57, v74, v62
	v_pk_fma_f16 v63, v58, v73, v63
	v_pk_fma_f16 v64, v58, v74, v64
	v_pk_fma_f16 v65, v59, v73, v65
	v_pk_fma_f16 v66, v59, v74, v66
	v_pk_fma_f16 v67, v60, v73, v67
	v_pk_fma_f16 v68, v60, v74, v68
	ds_read2_b64 v[53:56], v45 offset1:32
	ds_read2_b64 v[57:60], v45 offset0:64 offset1:96
	v_mul_u32_u24_sdwa v73, v79, s15 dst_sel:DWORD dst_unused:UNUSED_PAD src0_sel:WORD_0 src1_sel:DWORD
	v_mul_u32_u24_sdwa v74, v79, s15 dst_sel:DWORD dst_unused:UNUSED_PAD src0_sel:WORD_1 src1_sel:DWORD
	s_waitcnt lgkmcnt(1)
	v_pk_fma_f16 v75, v53, v73, v75
	v_pk_fma_f16 v69, v53, v74, v69
	v_pk_fma_f16 v76, v54, v73, v76
	v_pk_fma_f16 v70, v54, v74, v70
	v_pk_fma_f16 v77, v55, v73, v77
	v_pk_fma_f16 v71, v55, v74, v71
	v_pk_fma_f16 v78, v56, v73, v78
	v_pk_fma_f16 v72, v56, v74, v72
	s_waitcnt lgkmcnt(0)
	v_pk_fma_f16 v61, v57, v73, v61
	v_pk_fma_f16 v62, v57, v74, v62
	v_pk_fma_f16 v63, v58, v73, v63
	v_pk_fma_f16 v64, v58, v74, v64
	v_pk_fma_f16 v65, v59, v73, v65
	v_pk_fma_f16 v66, v59, v74, v66
	v_pk_fma_f16 v67, v60, v73, v67
	v_pk_fma_f16 v68, v60, v74, v68
	ds_read2_b64 v[53:56], v45 offset0:128 offset1:160
	ds_read2_b64 v[57:60], v45 offset0:192 offset1:224
	v_mul_u32_u24_sdwa v73, v80, s15 dst_sel:DWORD dst_unused:UNUSED_PAD src0_sel:WORD_0 src1_sel:DWORD
	v_mul_u32_u24_sdwa v74, v80, s15 dst_sel:DWORD dst_unused:UNUSED_PAD src0_sel:WORD_1 src1_sel:DWORD
	s_waitcnt lgkmcnt(1)
	v_pk_fma_f16 v75, v53, v73, v75
	v_pk_fma_f16 v69, v53, v74, v69
	v_pk_fma_f16 v76, v54, v73, v76
	v_pk_fma_f16 v70, v54, v74, v70
	v_pk_fma_f16 v77, v55, v73, v77
	v_pk_fma_f16 v71, v55, v74, v71
	v_pk_fma_f16 v78, v56, v73, v78
	v_pk_fma_f16 v72, v56, v74, v72
	s_waitcnt lgkmcnt(0)
	v_pk_fma_f16 v61, v57, v73, v61
	v_pk_fma_f16 v62, v57, v74, v62
	v_pk_fma_f16 v63, v58, v73, v63
	v_pk_fma_f16 v64, v58, v74, v64
	v_pk_fma_f16 v65, v59, v73, v65
	v_pk_fma_f16 v66, v59, v74, v66
	v_pk_fma_f16 v67, v60, v73, v67
	v_pk_fma_f16 v68, v60, v74, v68
	ds_read2_b64 v[53:56], v46 offset1:32
	ds_read2_b64 v[57:60], v46 offset0:64 offset1:96
	v_mul_u32_u24_sdwa v73, v9, s15 dst_sel:DWORD dst_unused:UNUSED_PAD src0_sel:WORD_0 src1_sel:DWORD
	v_mul_u32_u24_sdwa v9, v9, s15 dst_sel:DWORD dst_unused:UNUSED_PAD src0_sel:WORD_1 src1_sel:DWORD
	s_waitcnt lgkmcnt(1)
	v_pk_fma_f16 v74, v53, v73, v75
	v_pk_fma_f16 v69, v53, v9, v69
	v_pk_fma_f16 v75, v54, v73, v76
	v_pk_fma_f16 v70, v54, v9, v70
	v_pk_fma_f16 v76, v55, v73, v77
	v_pk_fma_f16 v71, v55, v9, v71
	v_pk_fma_f16 v77, v56, v73, v78
	v_pk_fma_f16 v72, v56, v9, v72
	s_waitcnt lgkmcnt(0)
	v_pk_fma_f16 v61, v57, v73, v61
	v_pk_fma_f16 v62, v57, v9, v62
	v_pk_fma_f16 v63, v58, v73, v63
	v_pk_fma_f16 v64, v58, v9, v64
	v_pk_fma_f16 v65, v59, v73, v65
	v_pk_fma_f16 v66, v59, v9, v66
	v_pk_fma_f16 v67, v60, v73, v67
	v_pk_fma_f16 v9, v60, v9, v68
	ds_read2_b64 v[53:56], v46 offset0:128 offset1:160
	ds_read2_b64 v[57:60], v46 offset0:192 offset1:224
	;; [unrolled: 44-line block ×6, first 2 shown]
	v_mul_u32_u24_sdwa v56, v2, s15 dst_sel:DWORD dst_unused:UNUSED_PAD src0_sel:WORD_0 src1_sel:DWORD
	v_mul_u32_u24_sdwa v2, v2, s15 dst_sel:DWORD dst_unused:UNUSED_PAD src0_sel:WORD_1 src1_sel:DWORD
	s_waitcnt lgkmcnt(1)
	v_pk_fma_f16 v60, v5, v56, v60
	v_pk_fma_f16 v62, v5, v2, v63
	;; [unrolled: 1-line block ×8, first 2 shown]
	s_waitcnt lgkmcnt(0)
	v_pk_fma_f16 v61, v9, v56, v61
	v_pk_fma_f16 v53, v9, v2, v53
	;; [unrolled: 1-line block ×8, first 2 shown]
	ds_read2_b64 v[5:8], v51 offset1:32
	ds_read2_b64 v[9:12], v51 offset0:64 offset1:96
	v_mul_u32_u24_sdwa v2, v3, s15 dst_sel:DWORD dst_unused:UNUSED_PAD src0_sel:WORD_0 src1_sel:DWORD
	v_mul_u32_u24_sdwa v3, v3, s15 dst_sel:DWORD dst_unused:UNUSED_PAD src0_sel:WORD_1 src1_sel:DWORD
	s_waitcnt lgkmcnt(1)
	v_pk_fma_f16 v59, v5, v2, v60
	v_pk_fma_f16 v5, v5, v3, v62
	;; [unrolled: 1-line block ×8, first 2 shown]
	s_waitcnt lgkmcnt(0)
	v_pk_fma_f16 v70, v9, v2, v61
	v_pk_fma_f16 v71, v9, v3, v53
	ds_read2_b64 v[6:9], v51 offset0:128 offset1:160
	ds_read2_b64 v[61:64], v51 offset0:192 offset1:224
	s_waitcnt lgkmcnt(0)
	s_barrier
	s_load_dword s18, s[0:1], 0x4
	v_pk_fma_f16 v57, v10, v2, v57
	v_pk_fma_f16 v54, v10, v3, v54
	;; [unrolled: 1-line block ×4, first 2 shown]
	s_waitcnt lgkmcnt(0)
	s_lshl_b32 s18, s18, 7
	v_pk_fma_f16 v2, v12, v2, v56
	v_pk_fma_f16 v1, v12, v3, v1
	v_mul_u32_u24_sdwa v3, v4, s15 dst_sel:DWORD dst_unused:UNUSED_PAD src0_sel:WORD_0 src1_sel:DWORD
	v_mul_u32_u24_sdwa v4, v4, s15 dst_sel:DWORD dst_unused:UNUSED_PAD src0_sel:WORD_1 src1_sel:DWORD
	s_add_i32 s6, s18, s6
	v_pk_fma_f16 v53, v6, v3, v59
	v_pk_fma_f16 v6, v6, v4, v5
	;; [unrolled: 1-line block ×16, first 2 shown]
	s_cmp_ge_i32 s6, s24
	s_cbranch_scc0 .LBB0_13
.LBB0_14:
	v_cmp_lt_i32_e32 vcc, v30, v25
	v_cndmask_b32_e32 v1, v24, v30, vcc
	v_lshlrev_b32_e32 v1, 2, v1
	ds_bpermute_b32 v2, v1, v52
	ds_bpermute_b32 v1, v1, v31
	v_cmp_lt_i32_e32 vcc, v29, v25
	v_cndmask_b32_e32 v3, v24, v29, vcc
	v_lshlrev_b32_e32 v3, 2, v3
	s_waitcnt lgkmcnt(1)
	v_add_f32_e32 v2, v52, v2
	s_waitcnt lgkmcnt(0)
	v_add_f32_e32 v1, v31, v1
	ds_bpermute_b32 v4, v3, v2
	ds_bpermute_b32 v3, v3, v1
	v_cmp_lt_i32_e32 vcc, v28, v25
	v_cndmask_b32_e32 v13, v24, v28, vcc
	v_lshlrev_b32_e32 v13, 2, v13
	s_waitcnt lgkmcnt(1)
	v_add_f32_e32 v2, v2, v4
	s_waitcnt lgkmcnt(0)
	v_add_f32_e32 v1, v1, v3
	;; [unrolled: 9-line block ×4, first 2 shown]
	ds_bpermute_b32 v4, v13, v2
	ds_bpermute_b32 v13, v13, v3
	s_cmp_lg_u64 s[16:17], 0
	s_cselect_b64 s[0:1], -1, 0
	s_cmp_eq_u32 s7, 0
	s_cselect_b64 s[8:9], -1, 0
	s_and_b64 s[0:1], s[8:9], s[0:1]
	s_waitcnt lgkmcnt(1)
	v_add_f32_e32 v1, v2, v4
	s_waitcnt lgkmcnt(0)
	v_add_f32_e32 v2, v3, v13
	s_and_b64 vcc, exec, s[0:1]
	s_cbranch_vccz .LBB0_17
; %bb.15:
	v_add_u32_e32 v3, s25, v21
	v_ashrrev_i32_e32 v4, 31, v3
	v_lshlrev_b64 v[3:4], 2, v[3:4]
	v_mov_b32_e32 v13, s17
	v_add_co_u32_e32 v3, vcc, s16, v3
	v_addc_co_u32_e32 v4, vcc, v13, v4, vcc
	global_load_dwordx2 v[3:4], v[3:4], off
	v_max_f32_e32 v13, v18, v18
	v_max_f32_e32 v14, v19, v19
	s_mov_b32 s0, 0x3fb8aa3b
	s_mov_b32 s1, 0xc2ce8ed0
	;; [unrolled: 1-line block ×3, first 2 shown]
	v_mov_b32_e32 v15, 0x7f800000
	s_waitcnt vmcnt(0)
	v_max_f32_e32 v16, v3, v3
	v_max_f32_e32 v17, v4, v4
	;; [unrolled: 1-line block ×4, first 2 shown]
	v_sub_f32_e32 v16, v18, v13
	v_sub_f32_e32 v17, v19, v14
	v_mov_b32_e32 v19, v14
	v_sub_f32_e32 v3, v3, v13
	v_mov_b32_e32 v18, v13
	v_mul_f32_e32 v13, 0x3fb8aa3b, v16
	v_sub_f32_e32 v4, v4, v14
	v_mul_f32_e32 v14, 0x3fb8aa3b, v3
	v_fma_f32 v25, v16, s0, -v13
	v_rndne_f32_e32 v26, v13
	v_mul_f32_e32 v23, 0x3fb8aa3b, v17
	v_fma_f32 v27, v3, s0, -v14
	v_rndne_f32_e32 v28, v14
	v_fmac_f32_e32 v25, 0x32a5705f, v16
	v_sub_f32_e32 v13, v13, v26
	v_mul_f32_e32 v24, 0x3fb8aa3b, v4
	v_fma_f32 v29, v17, s0, -v23
	v_rndne_f32_e32 v30, v23
	v_fmac_f32_e32 v27, 0x32a5705f, v3
	v_sub_f32_e32 v14, v14, v28
	v_add_f32_e32 v13, v13, v25
	v_fma_f32 v31, v4, s0, -v24
	v_rndne_f32_e32 v32, v24
	v_cvt_i32_f32_e32 v26, v26
	v_fmac_f32_e32 v29, 0x32a5705f, v17
	v_sub_f32_e32 v23, v23, v30
	v_add_f32_e32 v14, v14, v27
	v_exp_f32_e32 v13, v13
	v_cvt_i32_f32_e32 v28, v28
	v_fmac_f32_e32 v31, 0x32a5705f, v4
	v_sub_f32_e32 v24, v24, v32
	v_add_f32_e32 v23, v23, v29
	v_exp_f32_e32 v14, v14
	v_cvt_i32_f32_e32 v30, v30
	v_add_f32_e32 v24, v24, v31
	v_exp_f32_e32 v23, v23
	v_cvt_i32_f32_e32 v32, v32
	v_exp_f32_e32 v24, v24
	v_ldexp_f32 v13, v13, v26
	v_cmp_ngt_f32_e32 vcc, s1, v16
	v_ldexp_f32 v14, v14, v28
	v_cndmask_b32_e32 v13, 0, v13, vcc
	v_cmp_ngt_f32_e32 vcc, s1, v3
	v_ldexp_f32 v23, v23, v30
	v_cndmask_b32_e32 v14, 0, v14, vcc
	;; [unrolled: 3-line block ×3, first 2 shown]
	v_cmp_ngt_f32_e32 vcc, s1, v4
	v_cndmask_b32_e32 v24, 0, v24, vcc
	v_cmp_nlt_f32_e32 vcc, s6, v16
	v_cndmask_b32_e32 v13, v15, v13, vcc
	v_cmp_nlt_f32_e32 vcc, s6, v3
	;; [unrolled: 2-line block ×4, first 2 shown]
	v_cndmask_b32_e32 v4, v15, v24, vcc
	v_fmac_f32_e32 v3, v1, v13
	v_cvt_f16_f32_e32 v13, v13
	v_cvt_f16_f32_e32 v15, v14
	v_fmac_f32_e32 v4, v2, v14
	v_mov_b32_e32 v1, v3
	v_mul_u32_u24_e32 v2, 0x10001, v13
	v_mul_u32_u24_e32 v13, 0x10001, v15
	v_pk_mul_f16 v53, v53, v2
	v_pk_mul_f16 v60, v60, v2
	;; [unrolled: 1-line block ×16, first 2 shown]
	v_mov_b32_e32 v2, v4
	v_cmp_gt_i32_e32 vcc, s2, v20
	s_and_saveexec_b64 s[0:1], vcc
	s_cbranch_execnz .LBB0_18
.LBB0_16:
	s_endpgm
.LBB0_17:
	v_mov_b32_e32 v4, v2
	v_mov_b32_e32 v3, v1
	v_cmp_gt_i32_e32 vcc, s2, v20
	s_and_saveexec_b64 s[0:1], vcc
	s_cbranch_execz .LBB0_16
.LBB0_18:
	s_load_dword s6, s[4:5], 0xd4
	v_mov_b32_e32 v13, 1.0
	s_waitcnt lgkmcnt(0)
	s_cmp_lg_u32 s6, 1
	s_cselect_b64 s[0:1], -1, 0
	s_cmp_eq_u32 s6, 1
	s_cselect_b64 s[4:5], -1, 0
	s_and_b64 vcc, exec, s[0:1]
	s_cbranch_vccnz .LBB0_20
; %bb.19:
	v_div_scale_f32 v13, s[8:9], v1, v1, 1.0
	v_div_scale_f32 v14, vcc, 1.0, v1, 1.0
	v_rcp_f32_e32 v15, v13
	v_fma_f32 v16, -v13, v15, 1.0
	v_fmac_f32_e32 v15, v16, v15
	v_mul_f32_e32 v16, v14, v15
	v_fma_f32 v17, -v13, v16, v14
	v_fmac_f32_e32 v16, v17, v15
	v_fma_f32 v13, -v13, v16, v14
	v_div_fmas_f32 v13, v13, v15, v16
	v_div_fixup_f32 v13, v13, v1, 1.0
.LBB0_20:
	s_mul_i32 s30, s30, s2
	v_add_u32_e32 v1, s30, v20
	v_mul_lo_u32 v1, v1, s3
	v_cmp_eq_u32_e32 vcc, 0, v0
	v_cvt_f32_f16_sdwa v14, v60 dst_sel:DWORD dst_unused:UNUSED_PAD src0_sel:WORD_1
	v_cvt_f32_f16_e32 v15, v60
	v_add3_u32 v0, s25, v21, v1
	v_mul_lo_u32 v0, s6, v0
	v_cvt_f32_f16_e32 v21, v53
	v_cvt_f32_f16_sdwa v1, v53 dst_sel:DWORD dst_unused:UNUSED_PAD src0_sel:WORD_1
	v_mul_f32_e32 v17, v13, v14
	v_add_u32_e32 v0, s7, v0
	v_lshl_add_u32 v20, v0, 9, v22
	v_mul_f32_e32 v14, v13, v21
	v_mov_b32_e32 v21, 0
	v_lshlrev_b64 v[23:24], 2, v[20:21]
	s_and_b64 s[0:1], vcc, s[0:1]
	v_mul_f32_e32 v16, v13, v15
	v_mul_f32_e32 v15, v13, v1
	v_mov_b32_e32 v1, s21
	v_add_co_u32_e32 v23, vcc, s20, v23
	v_addc_co_u32_e32 v24, vcc, v1, v24, vcc
	global_store_dwordx4 v[23:24], v[14:17], off
	v_cvt_f32_f16_e32 v23, v58
	v_cvt_f32_f16_e32 v14, v59
	v_cvt_f32_f16_sdwa v1, v59 dst_sel:DWORD dst_unused:UNUSED_PAD src0_sel:WORD_1
	v_cvt_f32_f16_sdwa v15, v58 dst_sel:DWORD dst_unused:UNUSED_PAD src0_sel:WORD_1
	v_mov_b32_e32 v24, v21
	v_mul_f32_e32 v16, v13, v14
	v_mul_f32_e32 v14, v13, v23
	v_add_u32_e32 v23, 0x80, v20
	v_lshlrev_b64 v[23:24], 2, v[23:24]
	v_mul_f32_e32 v17, v13, v1
	v_mov_b32_e32 v1, s21
	v_add_co_u32_e32 v23, vcc, s20, v23
	v_mul_f32_e32 v15, v13, v15
	v_addc_co_u32_e32 v24, vcc, v1, v24, vcc
	global_store_dwordx4 v[23:24], v[14:17], off
	v_cvt_f32_f16_e32 v23, v56
	v_cvt_f32_f16_e32 v14, v57
	v_cvt_f32_f16_sdwa v1, v57 dst_sel:DWORD dst_unused:UNUSED_PAD src0_sel:WORD_1
	v_cvt_f32_f16_sdwa v15, v56 dst_sel:DWORD dst_unused:UNUSED_PAD src0_sel:WORD_1
	v_mov_b32_e32 v24, v21
	v_mul_f32_e32 v16, v13, v14
	v_mul_f32_e32 v14, v13, v23
	v_add_u32_e32 v23, 0x100, v20
	v_lshlrev_b64 v[23:24], 2, v[23:24]
	v_mul_f32_e32 v17, v13, v1
	v_mov_b32_e32 v1, s21
	v_add_co_u32_e32 v23, vcc, s20, v23
	v_mul_f32_e32 v15, v13, v15
	v_addc_co_u32_e32 v24, vcc, v1, v24, vcc
	v_cvt_f32_f16_sdwa v1, v55 dst_sel:DWORD dst_unused:UNUSED_PAD src0_sel:WORD_1
	global_store_dwordx4 v[23:24], v[14:17], off
	v_cvt_f32_f16_e32 v23, v54
	v_cvt_f32_f16_e32 v14, v55
	v_cvt_f32_f16_sdwa v17, v54 dst_sel:DWORD dst_unused:UNUSED_PAD src0_sel:WORD_1
	v_add_u32_e32 v20, 0x180, v20
	v_lshlrev_b64 v[20:21], 2, v[20:21]
	v_mul_f32_e32 v16, v13, v1
	v_mov_b32_e32 v1, s21
	v_add_co_u32_e32 v20, vcc, s20, v20
	v_mul_f32_e32 v15, v13, v14
	v_mul_f32_e32 v14, v13, v17
	;; [unrolled: 1-line block ×3, first 2 shown]
	v_addc_co_u32_e32 v21, vcc, v1, v21, vcc
	global_store_dwordx4 v[20:21], v[13:16], off
	s_and_saveexec_b64 s[2:3], s[0:1]
	s_cbranch_execz .LBB0_22
; %bb.21:
	v_ashrrev_i32_e32 v1, 31, v0
	v_lshlrev_b64 v[13:14], 3, v[0:1]
	v_mov_b32_e32 v1, s23
	v_add_co_u32_e32 v13, vcc, s22, v13
	v_addc_co_u32_e32 v14, vcc, v1, v14, vcc
	v_mov_b32_e32 v15, v18
	v_mov_b32_e32 v16, v3
	global_store_dwordx2 v[13:14], v[15:16], off
.LBB0_22:
	s_or_b64 exec, exec, s[2:3]
	s_andn2_b64 vcc, exec, s[4:5]
	v_mov_b32_e32 v1, 1.0
	s_cbranch_vccnz .LBB0_24
; %bb.23:
	v_div_scale_f32 v1, s[2:3], v2, v2, 1.0
	v_div_scale_f32 v3, vcc, 1.0, v2, 1.0
	v_rcp_f32_e32 v13, v1
	v_fma_f32 v14, -v1, v13, 1.0
	v_fmac_f32_e32 v13, v14, v13
	v_mul_f32_e32 v14, v3, v13
	v_fma_f32 v15, -v1, v14, v3
	v_fmac_f32_e32 v14, v15, v13
	v_fma_f32 v1, -v1, v14, v3
	v_div_fmas_f32 v1, v1, v13, v14
	v_div_fixup_f32 v1, v1, v2, 1.0
.LBB0_24:
	v_cvt_f32_f16_sdwa v3, v12 dst_sel:DWORD dst_unused:UNUSED_PAD src0_sel:WORD_1
	v_add_u32_e32 v0, s6, v0
	v_cvt_f32_f16_e32 v12, v12
	v_cvt_f32_f16_sdwa v13, v6 dst_sel:DWORD dst_unused:UNUSED_PAD src0_sel:WORD_1
	v_cvt_f32_f16_e32 v6, v6
	v_lshl_add_u32 v2, v0, 9, v22
	v_mul_f32_e32 v15, v1, v3
	v_mov_b32_e32 v3, 0
	v_lshlrev_b64 v[16:17], 2, v[2:3]
	v_mul_f32_e32 v14, v1, v12
	v_mul_f32_e32 v12, v1, v6
	v_mov_b32_e32 v6, s21
	v_add_co_u32_e32 v16, vcc, s20, v16
	v_mul_f32_e32 v13, v1, v13
	v_addc_co_u32_e32 v17, vcc, v6, v17, vcc
	global_store_dwordx4 v[16:17], v[12:15], off
	v_cvt_f32_f16_sdwa v6, v11 dst_sel:DWORD dst_unused:UNUSED_PAD src0_sel:WORD_1
	v_cvt_f32_f16_e32 v11, v11
	v_cvt_f32_f16_sdwa v14, v10 dst_sel:DWORD dst_unused:UNUSED_PAD src0_sel:WORD_1
	v_cvt_f32_f16_e32 v10, v10
	v_mov_b32_e32 v15, v3
	v_mul_f32_e32 v12, v1, v11
	v_mul_f32_e32 v11, v1, v14
	v_add_u32_e32 v14, 0x80, v2
	v_lshlrev_b64 v[14:15], 2, v[14:15]
	v_mul_f32_e32 v13, v1, v6
	v_mov_b32_e32 v6, s21
	v_add_co_u32_e32 v14, vcc, s20, v14
	v_mul_f32_e32 v10, v1, v10
	v_addc_co_u32_e32 v15, vcc, v6, v15, vcc
	global_store_dwordx4 v[14:15], v[10:13], off
	v_cvt_f32_f16_sdwa v6, v9 dst_sel:DWORD dst_unused:UNUSED_PAD src0_sel:WORD_1
	v_cvt_f32_f16_e32 v9, v9
	v_cvt_f32_f16_sdwa v12, v8 dst_sel:DWORD dst_unused:UNUSED_PAD src0_sel:WORD_1
	v_cvt_f32_f16_e32 v8, v8
	v_mov_b32_e32 v13, v3
	v_mul_f32_e32 v10, v1, v9
	v_mul_f32_e32 v9, v1, v12
	v_add_u32_e32 v12, 0x100, v2
	v_lshlrev_b64 v[12:13], 2, v[12:13]
	v_mul_f32_e32 v11, v1, v6
	v_mov_b32_e32 v6, s21
	v_add_co_u32_e32 v12, vcc, s20, v12
	v_mul_f32_e32 v8, v1, v8
	v_addc_co_u32_e32 v13, vcc, v6, v13, vcc
	global_store_dwordx4 v[12:13], v[8:11], off
	v_cvt_f32_f16_sdwa v6, v5 dst_sel:DWORD dst_unused:UNUSED_PAD src0_sel:WORD_1
	v_cvt_f32_f16_e32 v5, v5
	v_cvt_f32_f16_sdwa v9, v7 dst_sel:DWORD dst_unused:UNUSED_PAD src0_sel:WORD_1
	v_cvt_f32_f16_e32 v10, v7
	v_add_u32_e32 v2, 0x180, v2
	v_mul_f32_e32 v8, v1, v6
	v_mul_f32_e32 v7, v1, v5
	;; [unrolled: 1-line block ×4, first 2 shown]
	v_lshlrev_b64 v[1:2], 2, v[2:3]
	v_mov_b32_e32 v3, s21
	v_add_co_u32_e32 v1, vcc, s20, v1
	v_addc_co_u32_e32 v2, vcc, v3, v2, vcc
	global_store_dwordx4 v[1:2], v[5:8], off
	s_and_b64 exec, exec, s[0:1]
	s_cbranch_execz .LBB0_16
; %bb.25:
	v_ashrrev_i32_e32 v1, 31, v0
	v_lshlrev_b64 v[0:1], 3, v[0:1]
	v_mov_b32_e32 v2, s23
	v_add_co_u32_e32 v0, vcc, s22, v0
	v_addc_co_u32_e32 v1, vcc, v2, v1, vcc
	v_mov_b32_e32 v3, v19
	global_store_dwordx2 v[0:1], v[3:4], off
	s_endpgm
	.section	.rodata,"a",@progbits
	.p2align	6, 0x0
	.amdhsa_kernel _ZL15flash_attn_tileILi576ELi512ELi2ELi16ELb0EEvPKcS1_S1_S1_S1_PKiPfP15HIP_vector_typeIfLj2EEffffjfiS5_IjLj3EEiiiiiiiiiiiliiliiiiil
		.amdhsa_group_segment_fixed_size 63488
		.amdhsa_private_segment_fixed_size 0
		.amdhsa_kernarg_size 464
		.amdhsa_user_sgpr_count 6
		.amdhsa_user_sgpr_private_segment_buffer 1
		.amdhsa_user_sgpr_dispatch_ptr 0
		.amdhsa_user_sgpr_queue_ptr 0
		.amdhsa_user_sgpr_kernarg_segment_ptr 1
		.amdhsa_user_sgpr_dispatch_id 0
		.amdhsa_user_sgpr_flat_scratch_init 0
		.amdhsa_user_sgpr_private_segment_size 0
		.amdhsa_uses_dynamic_stack 0
		.amdhsa_system_sgpr_private_segment_wavefront_offset 0
		.amdhsa_system_sgpr_workgroup_id_x 1
		.amdhsa_system_sgpr_workgroup_id_y 1
		.amdhsa_system_sgpr_workgroup_id_z 1
		.amdhsa_system_sgpr_workgroup_info 0
		.amdhsa_system_vgpr_workitem_id 1
		.amdhsa_next_free_vgpr 93
		.amdhsa_next_free_sgpr 98
		.amdhsa_reserve_vcc 1
		.amdhsa_reserve_flat_scratch 0
		.amdhsa_float_round_mode_32 0
		.amdhsa_float_round_mode_16_64 0
		.amdhsa_float_denorm_mode_32 3
		.amdhsa_float_denorm_mode_16_64 3
		.amdhsa_dx10_clamp 1
		.amdhsa_ieee_mode 1
		.amdhsa_fp16_overflow 0
		.amdhsa_exception_fp_ieee_invalid_op 0
		.amdhsa_exception_fp_denorm_src 0
		.amdhsa_exception_fp_ieee_div_zero 0
		.amdhsa_exception_fp_ieee_overflow 0
		.amdhsa_exception_fp_ieee_underflow 0
		.amdhsa_exception_fp_ieee_inexact 0
		.amdhsa_exception_int_div_zero 0
	.end_amdhsa_kernel
	.section	.text._ZL15flash_attn_tileILi576ELi512ELi2ELi16ELb0EEvPKcS1_S1_S1_S1_PKiPfP15HIP_vector_typeIfLj2EEffffjfiS5_IjLj3EEiiiiiiiiiiiliiliiiiil,"axG",@progbits,_ZL15flash_attn_tileILi576ELi512ELi2ELi16ELb0EEvPKcS1_S1_S1_S1_PKiPfP15HIP_vector_typeIfLj2EEffffjfiS5_IjLj3EEiiiiiiiiiiiliiliiiiil,comdat
.Lfunc_end0:
	.size	_ZL15flash_attn_tileILi576ELi512ELi2ELi16ELb0EEvPKcS1_S1_S1_S1_PKiPfP15HIP_vector_typeIfLj2EEffffjfiS5_IjLj3EEiiiiiiiiiiiliiliiiiil, .Lfunc_end0-_ZL15flash_attn_tileILi576ELi512ELi2ELi16ELb0EEvPKcS1_S1_S1_S1_PKiPfP15HIP_vector_typeIfLj2EEffffjfiS5_IjLj3EEiiiiiiiiiiiliiliiiiil
                                        ; -- End function
	.set _ZL15flash_attn_tileILi576ELi512ELi2ELi16ELb0EEvPKcS1_S1_S1_S1_PKiPfP15HIP_vector_typeIfLj2EEffffjfiS5_IjLj3EEiiiiiiiiiiiliiliiiiil.num_vgpr, 93
	.set _ZL15flash_attn_tileILi576ELi512ELi2ELi16ELb0EEvPKcS1_S1_S1_S1_PKiPfP15HIP_vector_typeIfLj2EEffffjfiS5_IjLj3EEiiiiiiiiiiiliiliiiiil.num_agpr, 0
	.set _ZL15flash_attn_tileILi576ELi512ELi2ELi16ELb0EEvPKcS1_S1_S1_S1_PKiPfP15HIP_vector_typeIfLj2EEffffjfiS5_IjLj3EEiiiiiiiiiiiliiliiiiil.numbered_sgpr, 40
	.set _ZL15flash_attn_tileILi576ELi512ELi2ELi16ELb0EEvPKcS1_S1_S1_S1_PKiPfP15HIP_vector_typeIfLj2EEffffjfiS5_IjLj3EEiiiiiiiiiiiliiliiiiil.num_named_barrier, 0
	.set _ZL15flash_attn_tileILi576ELi512ELi2ELi16ELb0EEvPKcS1_S1_S1_S1_PKiPfP15HIP_vector_typeIfLj2EEffffjfiS5_IjLj3EEiiiiiiiiiiiliiliiiiil.private_seg_size, 0
	.set _ZL15flash_attn_tileILi576ELi512ELi2ELi16ELb0EEvPKcS1_S1_S1_S1_PKiPfP15HIP_vector_typeIfLj2EEffffjfiS5_IjLj3EEiiiiiiiiiiiliiliiiiil.uses_vcc, 1
	.set _ZL15flash_attn_tileILi576ELi512ELi2ELi16ELb0EEvPKcS1_S1_S1_S1_PKiPfP15HIP_vector_typeIfLj2EEffffjfiS5_IjLj3EEiiiiiiiiiiiliiliiiiil.uses_flat_scratch, 0
	.set _ZL15flash_attn_tileILi576ELi512ELi2ELi16ELb0EEvPKcS1_S1_S1_S1_PKiPfP15HIP_vector_typeIfLj2EEffffjfiS5_IjLj3EEiiiiiiiiiiiliiliiiiil.has_dyn_sized_stack, 0
	.set _ZL15flash_attn_tileILi576ELi512ELi2ELi16ELb0EEvPKcS1_S1_S1_S1_PKiPfP15HIP_vector_typeIfLj2EEffffjfiS5_IjLj3EEiiiiiiiiiiiliiliiiiil.has_recursion, 0
	.set _ZL15flash_attn_tileILi576ELi512ELi2ELi16ELb0EEvPKcS1_S1_S1_S1_PKiPfP15HIP_vector_typeIfLj2EEffffjfiS5_IjLj3EEiiiiiiiiiiiliiliiiiil.has_indirect_call, 0
	.section	.AMDGPU.csdata,"",@progbits
; Kernel info:
; codeLenInByte = 51344
; TotalNumSgprs: 44
; NumVgprs: 93
; ScratchSize: 0
; MemoryBound: 0
; FloatMode: 240
; IeeeMode: 1
; LDSByteSize: 63488 bytes/workgroup (compile time only)
; SGPRBlocks: 12
; VGPRBlocks: 23
; NumSGPRsForWavesPerEU: 102
; NumVGPRsForWavesPerEU: 93
; Occupancy: 2
; WaveLimiterHint : 1
; COMPUTE_PGM_RSRC2:SCRATCH_EN: 0
; COMPUTE_PGM_RSRC2:USER_SGPR: 6
; COMPUTE_PGM_RSRC2:TRAP_HANDLER: 0
; COMPUTE_PGM_RSRC2:TGID_X_EN: 1
; COMPUTE_PGM_RSRC2:TGID_Y_EN: 1
; COMPUTE_PGM_RSRC2:TGID_Z_EN: 1
; COMPUTE_PGM_RSRC2:TIDIG_COMP_CNT: 1
	.section	.text._ZL25flash_attn_mask_to_KV_maxILi2EEvPK7__half2Piiii,"axG",@progbits,_ZL25flash_attn_mask_to_KV_maxILi2EEvPK7__half2Piiii,comdat
	.globl	_ZL25flash_attn_mask_to_KV_maxILi2EEvPK7__half2Piiii ; -- Begin function _ZL25flash_attn_mask_to_KV_maxILi2EEvPK7__half2Piiii
	.p2align	8
	.type	_ZL25flash_attn_mask_to_KV_maxILi2EEvPK7__half2Piiii,@function
_ZL25flash_attn_mask_to_KV_maxILi2EEvPK7__half2Piiii: ; @_ZL25flash_attn_mask_to_KV_maxILi2EEvPK7__half2Piiii
; %bb.0:
	s_load_dwordx4 s[8:11], s[4:5], 0x0
	v_cmp_gt_u32_e32 vcc, 32, v0
	s_and_saveexec_b64 s[0:1], vcc
; %bb.1:
	v_lshlrev_b32_e32 v1, 2, v0
	v_mov_b32_e32 v2, 1
	ds_write_b32 v1, v2
; %bb.2:
	s_or_b64 exec, exec, s[0:1]
	s_load_dwordx4 s[12:15], s[4:5], 0x10
	s_waitcnt lgkmcnt(0)
	s_load_dword s15, s[4:5], 0x20
	v_and_b32_e32 v1, 31, v0
	v_lshlrev_b32_e32 v4, 2, v1
                                        ; kill: killed $sgpr4_sgpr5
	v_lshrrev_b32_e32 v3, 3, v0
	s_mul_i32 s1, s6, s13
	s_mul_i32 s0, s14, s7
	s_lshl_b32 s1, s1, 1
	s_add_i32 s0, s0, s1
	s_ashr_i32 s1, s0, 31
	s_lshl_b64 s[0:1], s[0:1], 2
	s_add_u32 s14, s8, s0
	s_addc_u32 s16, s9, s1
	v_cmp_eq_u32_e64 s[0:1], 0, v1
	v_mbcnt_lo_u32_b32 v1, -1, 0
	v_mbcnt_hi_u32_b32 v5, -1, v1
	v_and_b32_e32 v1, 0x60, v5
	s_lshl_b32 s12, s12, 8
	s_mov_b64 s[4:5], 0
	v_mov_b32_e32 v2, 0
	s_movk_i32 s17, 0x204
	v_add_u32_e32 v6, 32, v1
	v_xor_b32_e32 v7, 16, v5
	v_xor_b32_e32 v8, 8, v5
	;; [unrolled: 1-line block ×5, first 2 shown]
	s_waitcnt lgkmcnt(0)
	s_barrier
                                        ; implicit-def: $sgpr2_sgpr3
	s_branch .LBB1_5
.LBB1_3:                                ;   in Loop: Header=BB1_5 Depth=1
	s_or_b64 exec, exec, s[8:9]
	s_waitcnt lgkmcnt(0)
	s_barrier
	ds_read_b32 v16, v4
	s_waitcnt lgkmcnt(0)
	s_barrier
	ds_bpermute_b32 v1, v1, v16
	v_cmp_ne_u32_e32 vcc, 0, v16
	s_waitcnt lgkmcnt(0)
	v_cmp_ne_u32_e64 s[2:3], 0, v1
	s_and_b64 s[2:3], vcc, s[2:3]
	v_cndmask_b32_e64 v1, 0, 1, s[2:3]
	ds_bpermute_b32 v1, v12, v1
	s_waitcnt lgkmcnt(0)
	v_cmp_ne_u32_e32 vcc, 0, v1
	s_and_b64 s[2:3], vcc, s[2:3]
	v_cndmask_b32_e64 v1, 0, 1, s[2:3]
	ds_bpermute_b32 v1, v13, v1
	s_waitcnt lgkmcnt(0)
	v_cmp_ne_u32_e32 vcc, 0, v1
	;; [unrolled: 5-line block ×3, first 2 shown]
	s_and_b64 s[2:3], vcc, s[2:3]
	v_cndmask_b32_e64 v1, 0, 1, s[2:3]
	ds_bpermute_b32 v1, v15, v1
	s_xor_b64 s[2:3], s[2:3], -1
	s_waitcnt lgkmcnt(0)
	v_cmp_eq_u32_e32 vcc, 0, v1
	s_or_b64 s[2:3], vcc, s[2:3]
.LBB1_4:                                ;   in Loop: Header=BB1_5 Depth=1
	s_and_b64 s[8:9], exec, s[2:3]
	s_or_b64 s[4:5], s[8:9], s[4:5]
	v_mov_b32_e32 v1, s12
	s_mov_b32 s12, s18
	s_andn2_b64 exec, exec, s[4:5]
	s_cbranch_execz .LBB1_12
.LBB1_5:                                ; =>This Inner Loop Header: Depth=1
	s_add_i32 s18, s12, 0xffffff00
	s_or_b64 s[2:3], s[2:3], exec
	s_cmp_lt_i32 s18, 0
	s_cbranch_scc1 .LBB1_4
; %bb.6:                                ;   in Loop: Header=BB1_5 Depth=1
	s_lshr_b32 s2, s18, 1
	v_add_u32_e32 v1, s2, v0
	v_lshlrev_b64 v[12:13], 2, v[1:2]
	v_mov_b32_e32 v14, s16
	v_add_co_u32_e32 v12, vcc, s14, v12
	v_addc_co_u32_e32 v13, vcc, v14, v13, vcc
	global_load_dword v12, v[12:13], off
	s_waitcnt vmcnt(0)
	v_cmp_class_f16_e64 s[2:3], v12, s17
	v_cmp_class_f16_sdwa s[8:9], v12, s17 src0_sel:WORD_1 src1_sel:DWORD
	s_and_b64 s[8:9], s[2:3], s[8:9]
	v_mov_b32_e32 v12, 0
	s_and_saveexec_b64 s[2:3], s[8:9]
	s_cbranch_execz .LBB1_10
; %bb.7:                                ;   in Loop: Header=BB1_5 Depth=1
	v_add_u32_e32 v12, s13, v1
	v_ashrrev_i32_e32 v13, 31, v12
	v_lshlrev_b64 v[12:13], 2, v[12:13]
	v_mov_b32_e32 v1, s16
	v_add_co_u32_e32 v12, vcc, s14, v12
	v_addc_co_u32_e32 v13, vcc, v1, v13, vcc
	global_load_dword v1, v[12:13], off
	v_mov_b32_e32 v12, 0
	s_waitcnt vmcnt(0)
	v_cmp_class_f16_e64 s[20:21], v1, s17
	s_and_saveexec_b64 s[8:9], s[20:21]
; %bb.8:                                ;   in Loop: Header=BB1_5 Depth=1
	v_cmp_class_f16_sdwa s[20:21], v1, s17 src0_sel:WORD_1 src1_sel:DWORD
	v_cndmask_b32_e64 v12, 0, 1, s[20:21]
; %bb.9:                                ;   in Loop: Header=BB1_5 Depth=1
	s_or_b64 exec, exec, s[8:9]
.LBB1_10:                               ;   in Loop: Header=BB1_5 Depth=1
	s_or_b64 exec, exec, s[2:3]
	v_cmp_lt_i32_e32 vcc, v7, v6
	v_cndmask_b32_e32 v1, v5, v7, vcc
	v_lshlrev_b32_e32 v1, 2, v1
	ds_bpermute_b32 v13, v1, v12
	v_cmp_ne_u32_e32 vcc, 0, v12
	s_waitcnt lgkmcnt(0)
	v_cmp_ne_u32_e64 s[2:3], 0, v13
	s_and_b64 s[2:3], vcc, s[2:3]
	v_cmp_lt_i32_e32 vcc, v8, v6
	v_cndmask_b32_e32 v12, v5, v8, vcc
	v_cndmask_b32_e64 v13, 0, 1, s[2:3]
	v_lshlrev_b32_e32 v12, 2, v12
	ds_bpermute_b32 v13, v12, v13
	s_waitcnt lgkmcnt(0)
	v_cmp_ne_u32_e32 vcc, 0, v13
	s_and_b64 s[2:3], vcc, s[2:3]
	v_cmp_lt_i32_e32 vcc, v9, v6
	v_cndmask_b32_e32 v13, v5, v9, vcc
	v_cndmask_b32_e64 v14, 0, 1, s[2:3]
	v_lshlrev_b32_e32 v13, 2, v13
	ds_bpermute_b32 v14, v13, v14
	s_waitcnt lgkmcnt(0)
	v_cmp_ne_u32_e32 vcc, 0, v14
	;; [unrolled: 8-line block ×3, first 2 shown]
	s_and_b64 s[2:3], vcc, s[2:3]
	v_cmp_lt_i32_e32 vcc, v11, v6
	v_cndmask_b32_e32 v15, v5, v11, vcc
	v_cndmask_b32_e64 v16, 0, 1, s[2:3]
	v_lshlrev_b32_e32 v15, 2, v15
	ds_bpermute_b32 v16, v15, v16
	s_and_saveexec_b64 s[8:9], s[0:1]
	s_cbranch_execz .LBB1_3
; %bb.11:                               ;   in Loop: Header=BB1_5 Depth=1
	s_waitcnt lgkmcnt(0)
	v_cmp_ne_u32_e32 vcc, 0, v16
	s_and_b64 s[2:3], vcc, s[2:3]
	v_cndmask_b32_e64 v16, 0, 1, s[2:3]
	ds_write_b32 v3, v16
	s_branch .LBB1_3
.LBB1_12:
	s_or_b64 exec, exec, s[4:5]
	v_cmp_eq_u32_e32 vcc, 0, v0
	s_and_saveexec_b64 s[0:1], vcc
	s_cbranch_execz .LBB1_14
; %bb.13:
	s_mul_i32 s0, s15, s7
	s_add_i32 s0, s0, s6
	s_ashr_i32 s1, s0, 31
	s_lshl_b64 s[0:1], s[0:1], 2
	s_add_u32 s0, s10, s0
	s_addc_u32 s1, s11, s1
	v_mov_b32_e32 v0, 0
	global_store_dword v0, v1, s[0:1]
.LBB1_14:
	s_endpgm
	.section	.rodata,"a",@progbits
	.p2align	6, 0x0
	.amdhsa_kernel _ZL25flash_attn_mask_to_KV_maxILi2EEvPK7__half2Piiii
		.amdhsa_group_segment_fixed_size 128
		.amdhsa_private_segment_fixed_size 0
		.amdhsa_kernarg_size 288
		.amdhsa_user_sgpr_count 6
		.amdhsa_user_sgpr_private_segment_buffer 1
		.amdhsa_user_sgpr_dispatch_ptr 0
		.amdhsa_user_sgpr_queue_ptr 0
		.amdhsa_user_sgpr_kernarg_segment_ptr 1
		.amdhsa_user_sgpr_dispatch_id 0
		.amdhsa_user_sgpr_flat_scratch_init 0
		.amdhsa_user_sgpr_private_segment_size 0
		.amdhsa_uses_dynamic_stack 0
		.amdhsa_system_sgpr_private_segment_wavefront_offset 0
		.amdhsa_system_sgpr_workgroup_id_x 1
		.amdhsa_system_sgpr_workgroup_id_y 1
		.amdhsa_system_sgpr_workgroup_id_z 0
		.amdhsa_system_sgpr_workgroup_info 0
		.amdhsa_system_vgpr_workitem_id 0
		.amdhsa_next_free_vgpr 17
		.amdhsa_next_free_sgpr 22
		.amdhsa_reserve_vcc 1
		.amdhsa_reserve_flat_scratch 0
		.amdhsa_float_round_mode_32 0
		.amdhsa_float_round_mode_16_64 0
		.amdhsa_float_denorm_mode_32 3
		.amdhsa_float_denorm_mode_16_64 3
		.amdhsa_dx10_clamp 1
		.amdhsa_ieee_mode 1
		.amdhsa_fp16_overflow 0
		.amdhsa_exception_fp_ieee_invalid_op 0
		.amdhsa_exception_fp_denorm_src 0
		.amdhsa_exception_fp_ieee_div_zero 0
		.amdhsa_exception_fp_ieee_overflow 0
		.amdhsa_exception_fp_ieee_underflow 0
		.amdhsa_exception_fp_ieee_inexact 0
		.amdhsa_exception_int_div_zero 0
	.end_amdhsa_kernel
	.section	.text._ZL25flash_attn_mask_to_KV_maxILi2EEvPK7__half2Piiii,"axG",@progbits,_ZL25flash_attn_mask_to_KV_maxILi2EEvPK7__half2Piiii,comdat
.Lfunc_end1:
	.size	_ZL25flash_attn_mask_to_KV_maxILi2EEvPK7__half2Piiii, .Lfunc_end1-_ZL25flash_attn_mask_to_KV_maxILi2EEvPK7__half2Piiii
                                        ; -- End function
	.set _ZL25flash_attn_mask_to_KV_maxILi2EEvPK7__half2Piiii.num_vgpr, 17
	.set _ZL25flash_attn_mask_to_KV_maxILi2EEvPK7__half2Piiii.num_agpr, 0
	.set _ZL25flash_attn_mask_to_KV_maxILi2EEvPK7__half2Piiii.numbered_sgpr, 22
	.set _ZL25flash_attn_mask_to_KV_maxILi2EEvPK7__half2Piiii.num_named_barrier, 0
	.set _ZL25flash_attn_mask_to_KV_maxILi2EEvPK7__half2Piiii.private_seg_size, 0
	.set _ZL25flash_attn_mask_to_KV_maxILi2EEvPK7__half2Piiii.uses_vcc, 1
	.set _ZL25flash_attn_mask_to_KV_maxILi2EEvPK7__half2Piiii.uses_flat_scratch, 0
	.set _ZL25flash_attn_mask_to_KV_maxILi2EEvPK7__half2Piiii.has_dyn_sized_stack, 0
	.set _ZL25flash_attn_mask_to_KV_maxILi2EEvPK7__half2Piiii.has_recursion, 0
	.set _ZL25flash_attn_mask_to_KV_maxILi2EEvPK7__half2Piiii.has_indirect_call, 0
	.section	.AMDGPU.csdata,"",@progbits
; Kernel info:
; codeLenInByte = 836
; TotalNumSgprs: 26
; NumVgprs: 17
; ScratchSize: 0
; MemoryBound: 0
; FloatMode: 240
; IeeeMode: 1
; LDSByteSize: 128 bytes/workgroup (compile time only)
; SGPRBlocks: 3
; VGPRBlocks: 4
; NumSGPRsForWavesPerEU: 26
; NumVGPRsForWavesPerEU: 17
; Occupancy: 10
; WaveLimiterHint : 0
; COMPUTE_PGM_RSRC2:SCRATCH_EN: 0
; COMPUTE_PGM_RSRC2:USER_SGPR: 6
; COMPUTE_PGM_RSRC2:TRAP_HANDLER: 0
; COMPUTE_PGM_RSRC2:TGID_X_EN: 1
; COMPUTE_PGM_RSRC2:TGID_Y_EN: 1
; COMPUTE_PGM_RSRC2:TGID_Z_EN: 0
; COMPUTE_PGM_RSRC2:TIDIG_COMP_CNT: 0
	.section	.text._ZL33flash_attn_stream_k_fixup_uniformILi512ELi2ELi16EEvPfPK15HIP_vector_typeIfLj2EEiiiiiiS1_IjLj3EES5_S5_,"axG",@progbits,_ZL33flash_attn_stream_k_fixup_uniformILi512ELi2ELi16EEvPfPK15HIP_vector_typeIfLj2EEiiiiiiS1_IjLj3EES5_S5_,comdat
	.globl	_ZL33flash_attn_stream_k_fixup_uniformILi512ELi2ELi16EEvPfPK15HIP_vector_typeIfLj2EEiiiiiiS1_IjLj3EES5_S5_ ; -- Begin function _ZL33flash_attn_stream_k_fixup_uniformILi512ELi2ELi16EEvPfPK15HIP_vector_typeIfLj2EEiiiiiiS1_IjLj3EES5_S5_
	.p2align	8
	.type	_ZL33flash_attn_stream_k_fixup_uniformILi512ELi2ELi16EEvPfPK15HIP_vector_typeIfLj2EEiiiiiiS1_IjLj3EES5_S5_,@function
_ZL33flash_attn_stream_k_fixup_uniformILi512ELi2ELi16EEvPfPK15HIP_vector_typeIfLj2EEiiiiiiS1_IjLj3EES5_S5_: ; @_ZL33flash_attn_stream_k_fixup_uniformILi512ELi2ELi16EEvPfPK15HIP_vector_typeIfLj2EEiiiiiiS1_IjLj3EES5_S5_
; %bb.0:
	s_load_dwordx8 s[12:19], s[4:5], 0x1c
	s_load_dwordx2 s[10:11], s[4:5], 0x10
	s_load_dwordx4 s[0:3], s[4:5], 0x3c
	s_waitcnt lgkmcnt(0)
	s_mul_hi_u32 s9, s15, s6
	s_add_i32 s9, s6, s9
	s_lshr_b32 s9, s9, s16
	s_mul_i32 s15, s9, s17
	s_sub_i32 s15, s6, s15
	s_mul_hi_u32 s16, s15, s18
	s_add_i32 s16, s15, s16
	s_lshr_b32 s16, s16, s19
	s_mul_i32 s0, s16, s0
	s_sub_i32 s0, s15, s0
	;; [unrolled: 5-line block ×3, first 2 shown]
	s_lshl_b32 s0, s17, 1
	s_lshl_b32 s15, s1, 4
	s_add_i32 s0, s0, s7
	s_cmp_lt_i32 s0, s10
	s_cselect_b64 s[0:1], -1, 0
	s_add_i32 s2, s15, s8
	s_cmp_lt_i32 s2, s13
	s_cselect_b64 s[2:3], -1, 0
	s_and_b64 s[0:1], s[0:1], s[2:3]
	s_andn2_b64 vcc, exec, s[0:1]
	s_cbranch_vccnz .LBB2_6
; %bb.1:
	s_load_dwordx4 s[0:3], s[4:5], 0x0
	s_mul_i32 s4, s9, s10
	s_add_i32 s4, s4, s7
	s_mul_i32 s4, s4, s11
	s_mul_i32 s16, s16, s13
	s_add_i32 s4, s4, s8
	s_add_i32 s4, s4, s16
	s_mul_i32 s5, s11, s17
	s_add_i32 s4, s4, s15
	s_lshl_b32 s5, s5, 10
	s_lshl_b32 s4, s4, 9
	s_add_i32 s5, s5, s4
	v_or_b32_e32 v1, s5, v0
	v_ashrrev_i32_e32 v2, 31, v1
	v_lshlrev_b64 v[1:2], 2, v[1:2]
	s_waitcnt lgkmcnt(0)
	v_mov_b32_e32 v3, s1
	v_add_co_u32_e32 v1, vcc, s0, v1
	v_addc_co_u32_e32 v2, vcc, v3, v2, vcc
	global_load_dword v8, v[1:2], off
	s_mul_i32 s9, s14, s6
	s_lshl_b32 s4, s7, 4
	s_add_i32 s11, s9, s14
	s_add_i32 s0, s4, s8
	s_lshl_b32 s1, s11, 5
	s_add_i32 s0, s0, s1
	s_sub_i32 s0, s0, 32
	s_ashr_i32 s1, s0, 31
	s_lshl_b64 s[0:1], s[0:1], 3
	s_add_u32 s0, s2, s0
	s_addc_u32 s1, s3, s1
	s_load_dword s5, s[0:1], 0x4
	s_add_i32 s10, s11, -2
	s_cmp_lt_i32 s10, s9
	s_cbranch_scc1 .LBB2_4
; %bb.2:
	s_lshl_b32 s16, s12, 7
	s_ashr_i32 s17, s16, 31
	s_lshl_b64 s[16:17], s[16:17], 2
	s_add_u32 s10, s2, s16
	s_addc_u32 s13, s3, s17
	s_add_i32 s6, s6, 1
	s_load_dword s0, s[0:1], 0x0
	s_mul_i32 s1, s14, s6
	s_lshl_b32 s7, s7, 13
	s_lshl_b32 s14, s8, 9
	;; [unrolled: 1-line block ×3, first 2 shown]
	s_add_i32 s7, s14, s7
	s_lshl_b32 s1, s1, 5
	s_add_i32 s7, s7, s6
	s_add_i32 s1, s8, s1
	s_lshl_b32 s6, s12, 5
	s_add_i32 s1, s1, s6
	v_or_b32_e32 v0, s7, v0
	s_add_i32 s1, s1, s4
	s_add_i32 s11, s11, -1
	v_add_u32_e32 v3, 0xffff8000, v0
	s_sub_i32 s4, s1, 64
	s_waitcnt lgkmcnt(0)
	v_mov_b32_e32 v7, s5
	v_mov_b32_e32 v6, s0
	;; [unrolled: 1-line block ×3, first 2 shown]
	s_mov_b32 s6, 0x3fb8aa3b
	s_mov_b32 s7, 0xc2ce8ed0
	;; [unrolled: 1-line block ×3, first 2 shown]
	v_mov_b32_e32 v5, 0x7f800000
	s_mov_b32 s12, 0xc1a00000
.LBB2_3:                                ; =>This Inner Loop Header: Depth=1
	v_ashrrev_i32_e32 v4, 31, v3
	v_lshlrev_b64 v[9:10], 2, v[3:4]
	s_ashr_i32 s5, s4, 31
	v_add_co_u32_e32 v9, vcc, s10, v9
	v_addc_co_u32_e32 v10, vcc, v0, v10, vcc
	global_load_dword v4, v[9:10], off
	s_lshl_b64 s[0:1], s[4:5], 3
	s_add_u32 s0, s2, s0
	s_addc_u32 s1, s3, s1
	s_load_dwordx2 s[14:15], s[0:1], 0x0
	s_waitcnt vmcnt(1)
	v_mov_b32_e32 v9, v8
	v_max_f32_e32 v8, v6, v6
	v_mov_b32_e32 v10, v7
	s_add_i32 s11, s11, -1
	s_waitcnt lgkmcnt(0)
	v_max_f32_e64 v7, s14, s14
	v_max_f32_e32 v7, v8, v7
	v_sub_f32_e32 v11, s14, v7
	v_sub_f32_e32 v8, v6, v7
	v_mul_f32_e32 v12, 0x3fb8aa3b, v11
	v_mov_b32_e32 v6, v7
	v_mul_f32_e32 v7, 0x3fb8aa3b, v8
	v_fma_f32 v15, v11, s6, -v12
	v_rndne_f32_e32 v16, v12
	v_fma_f32 v13, v8, s6, -v7
	v_rndne_f32_e32 v14, v7
	v_fmac_f32_e32 v15, 0x32a5705f, v11
	v_sub_f32_e32 v12, v12, v16
	v_fmac_f32_e32 v13, 0x32a5705f, v8
	v_sub_f32_e32 v7, v7, v14
	v_add_f32_e32 v12, v12, v15
	v_cvt_i32_f32_e32 v16, v16
	v_add_f32_e32 v7, v7, v13
	v_exp_f32_e32 v12, v12
	v_cvt_i32_f32_e32 v14, v14
	v_exp_f32_e32 v7, v7
	v_cmp_ngt_f32_e32 vcc, s7, v11
	v_ldexp_f32 v12, v12, v16
	v_cmp_ngt_f32_e64 s[0:1], s7, v8
	v_ldexp_f32 v7, v7, v14
	v_cndmask_b32_e32 v12, 0, v12, vcc
	v_cmp_nlt_f32_e32 vcc, s8, v11
	v_cndmask_b32_e64 v7, 0, v7, s[0:1]
	v_cmp_nlt_f32_e64 s[0:1], s8, v8
	v_cndmask_b32_e32 v12, v5, v12, vcc
	v_cmp_le_f32_e32 vcc, s12, v11
	v_cndmask_b32_e64 v7, v5, v7, s[0:1]
	v_cmp_le_f32_e64 s[0:1], s12, v8
	v_cndmask_b32_e32 v8, 0, v12, vcc
	s_sub_i32 s4, s4, 32
	v_cndmask_b32_e64 v11, 0, v7, s[0:1]
	v_mul_f32_e32 v7, s15, v8
	v_add_u32_e32 v3, 0xffffc000, v3
	s_cmp_le_i32 s11, s9
	v_fmac_f32_e32 v7, v10, v11
	s_waitcnt vmcnt(0)
	v_mul_f32_e32 v8, v4, v8
	v_fmac_f32_e32 v8, v9, v11
	s_cbranch_scc0 .LBB2_3
	s_branch .LBB2_5
.LBB2_4:
	s_waitcnt lgkmcnt(0)
	v_mov_b32_e32 v7, s5
.LBB2_5:
	s_waitcnt vmcnt(0)
	v_div_scale_f32 v0, s[0:1], v7, v7, v8
	v_div_scale_f32 v3, vcc, v8, v7, v8
	v_rcp_f32_e32 v4, v0
	v_fma_f32 v5, -v0, v4, 1.0
	v_fmac_f32_e32 v4, v5, v4
	v_mul_f32_e32 v5, v3, v4
	v_fma_f32 v6, -v0, v5, v3
	v_fmac_f32_e32 v5, v6, v4
	v_fma_f32 v0, -v0, v5, v3
	v_div_fmas_f32 v0, v0, v4, v5
	v_div_fixup_f32 v0, v0, v7, v8
	global_store_dword v[1:2], v0, off
.LBB2_6:
	s_endpgm
	.section	.rodata,"a",@progbits
	.p2align	6, 0x0
	.amdhsa_kernel _ZL33flash_attn_stream_k_fixup_uniformILi512ELi2ELi16EEvPfPK15HIP_vector_typeIfLj2EEiiiiiiS1_IjLj3EES5_S5_
		.amdhsa_group_segment_fixed_size 0
		.amdhsa_private_segment_fixed_size 0
		.amdhsa_kernarg_size 76
		.amdhsa_user_sgpr_count 6
		.amdhsa_user_sgpr_private_segment_buffer 1
		.amdhsa_user_sgpr_dispatch_ptr 0
		.amdhsa_user_sgpr_queue_ptr 0
		.amdhsa_user_sgpr_kernarg_segment_ptr 1
		.amdhsa_user_sgpr_dispatch_id 0
		.amdhsa_user_sgpr_flat_scratch_init 0
		.amdhsa_user_sgpr_private_segment_size 0
		.amdhsa_uses_dynamic_stack 0
		.amdhsa_system_sgpr_private_segment_wavefront_offset 0
		.amdhsa_system_sgpr_workgroup_id_x 1
		.amdhsa_system_sgpr_workgroup_id_y 1
		.amdhsa_system_sgpr_workgroup_id_z 1
		.amdhsa_system_sgpr_workgroup_info 0
		.amdhsa_system_vgpr_workitem_id 0
		.amdhsa_next_free_vgpr 17
		.amdhsa_next_free_sgpr 20
		.amdhsa_reserve_vcc 1
		.amdhsa_reserve_flat_scratch 0
		.amdhsa_float_round_mode_32 0
		.amdhsa_float_round_mode_16_64 0
		.amdhsa_float_denorm_mode_32 3
		.amdhsa_float_denorm_mode_16_64 3
		.amdhsa_dx10_clamp 1
		.amdhsa_ieee_mode 1
		.amdhsa_fp16_overflow 0
		.amdhsa_exception_fp_ieee_invalid_op 0
		.amdhsa_exception_fp_denorm_src 0
		.amdhsa_exception_fp_ieee_div_zero 0
		.amdhsa_exception_fp_ieee_overflow 0
		.amdhsa_exception_fp_ieee_underflow 0
		.amdhsa_exception_fp_ieee_inexact 0
		.amdhsa_exception_int_div_zero 0
	.end_amdhsa_kernel
	.section	.text._ZL33flash_attn_stream_k_fixup_uniformILi512ELi2ELi16EEvPfPK15HIP_vector_typeIfLj2EEiiiiiiS1_IjLj3EES5_S5_,"axG",@progbits,_ZL33flash_attn_stream_k_fixup_uniformILi512ELi2ELi16EEvPfPK15HIP_vector_typeIfLj2EEiiiiiiS1_IjLj3EES5_S5_,comdat
.Lfunc_end2:
	.size	_ZL33flash_attn_stream_k_fixup_uniformILi512ELi2ELi16EEvPfPK15HIP_vector_typeIfLj2EEiiiiiiS1_IjLj3EES5_S5_, .Lfunc_end2-_ZL33flash_attn_stream_k_fixup_uniformILi512ELi2ELi16EEvPfPK15HIP_vector_typeIfLj2EEiiiiiiS1_IjLj3EES5_S5_
                                        ; -- End function
	.set _ZL33flash_attn_stream_k_fixup_uniformILi512ELi2ELi16EEvPfPK15HIP_vector_typeIfLj2EEiiiiiiS1_IjLj3EES5_S5_.num_vgpr, 17
	.set _ZL33flash_attn_stream_k_fixup_uniformILi512ELi2ELi16EEvPfPK15HIP_vector_typeIfLj2EEiiiiiiS1_IjLj3EES5_S5_.num_agpr, 0
	.set _ZL33flash_attn_stream_k_fixup_uniformILi512ELi2ELi16EEvPfPK15HIP_vector_typeIfLj2EEiiiiiiS1_IjLj3EES5_S5_.numbered_sgpr, 20
	.set _ZL33flash_attn_stream_k_fixup_uniformILi512ELi2ELi16EEvPfPK15HIP_vector_typeIfLj2EEiiiiiiS1_IjLj3EES5_S5_.num_named_barrier, 0
	.set _ZL33flash_attn_stream_k_fixup_uniformILi512ELi2ELi16EEvPfPK15HIP_vector_typeIfLj2EEiiiiiiS1_IjLj3EES5_S5_.private_seg_size, 0
	.set _ZL33flash_attn_stream_k_fixup_uniformILi512ELi2ELi16EEvPfPK15HIP_vector_typeIfLj2EEiiiiiiS1_IjLj3EES5_S5_.uses_vcc, 1
	.set _ZL33flash_attn_stream_k_fixup_uniformILi512ELi2ELi16EEvPfPK15HIP_vector_typeIfLj2EEiiiiiiS1_IjLj3EES5_S5_.uses_flat_scratch, 0
	.set _ZL33flash_attn_stream_k_fixup_uniformILi512ELi2ELi16EEvPfPK15HIP_vector_typeIfLj2EEiiiiiiS1_IjLj3EES5_S5_.has_dyn_sized_stack, 0
	.set _ZL33flash_attn_stream_k_fixup_uniformILi512ELi2ELi16EEvPfPK15HIP_vector_typeIfLj2EEiiiiiiS1_IjLj3EES5_S5_.has_recursion, 0
	.set _ZL33flash_attn_stream_k_fixup_uniformILi512ELi2ELi16EEvPfPK15HIP_vector_typeIfLj2EEiiiiiiS1_IjLj3EES5_S5_.has_indirect_call, 0
	.section	.AMDGPU.csdata,"",@progbits
; Kernel info:
; codeLenInByte = 856
; TotalNumSgprs: 24
; NumVgprs: 17
; ScratchSize: 0
; MemoryBound: 0
; FloatMode: 240
; IeeeMode: 1
; LDSByteSize: 0 bytes/workgroup (compile time only)
; SGPRBlocks: 2
; VGPRBlocks: 4
; NumSGPRsForWavesPerEU: 24
; NumVGPRsForWavesPerEU: 17
; Occupancy: 10
; WaveLimiterHint : 0
; COMPUTE_PGM_RSRC2:SCRATCH_EN: 0
; COMPUTE_PGM_RSRC2:USER_SGPR: 6
; COMPUTE_PGM_RSRC2:TRAP_HANDLER: 0
; COMPUTE_PGM_RSRC2:TGID_X_EN: 1
; COMPUTE_PGM_RSRC2:TGID_Y_EN: 1
; COMPUTE_PGM_RSRC2:TGID_Z_EN: 1
; COMPUTE_PGM_RSRC2:TIDIG_COMP_CNT: 0
	.section	.text._ZL33flash_attn_stream_k_fixup_generalILi512ELi2ELi16EEvPfPK15HIP_vector_typeIfLj2EEiiiiS1_IjLj3EES5_S5_S5_,"axG",@progbits,_ZL33flash_attn_stream_k_fixup_generalILi512ELi2ELi16EEvPfPK15HIP_vector_typeIfLj2EEiiiiS1_IjLj3EES5_S5_S5_,comdat
	.globl	_ZL33flash_attn_stream_k_fixup_generalILi512ELi2ELi16EEvPfPK15HIP_vector_typeIfLj2EEiiiiS1_IjLj3EES5_S5_S5_ ; -- Begin function _ZL33flash_attn_stream_k_fixup_generalILi512ELi2ELi16EEvPfPK15HIP_vector_typeIfLj2EEiiiiS1_IjLj3EES5_S5_S5_
	.p2align	8
	.type	_ZL33flash_attn_stream_k_fixup_generalILi512ELi2ELi16EEvPfPK15HIP_vector_typeIfLj2EEiiiiS1_IjLj3EES5_S5_S5_,@function
_ZL33flash_attn_stream_k_fixup_generalILi512ELi2ELi16EEvPfPK15HIP_vector_typeIfLj2EEiiiiS1_IjLj3EES5_S5_S5_: ; @_ZL33flash_attn_stream_k_fixup_generalILi512ELi2ELi16EEvPfPK15HIP_vector_typeIfLj2EEiiiiS1_IjLj3EES5_S5_S5_
; %bb.0:
	s_load_dwordx4 s[0:3], s[4:5], 0x10
	s_load_dword s22, s[4:5], 0x50
	s_mov_b32 s12, 0
	s_waitcnt lgkmcnt(0)
	s_mul_hi_i32 s13, s3, s6
	s_cmp_lg_u64 s[12:13], 0
	s_mul_i32 s9, s3, s6
	s_cbranch_scc0 .LBB3_20
; %bb.1:
	s_add_u32 s10, s22, 0
	s_addc_u32 s11, 0, 0
	s_xor_b64 s[10:11], s[10:11], 0
	v_cvt_f32_u32_e32 v1, s10
	v_cvt_f32_u32_e32 v2, s11
	s_sub_u32 s12, 0, s10
	s_subb_u32 s18, 0, s11
	v_madmk_f32 v1, v2, 0x4f800000, v1
	v_rcp_f32_e32 v1, v1
	v_mul_f32_e32 v1, 0x5f7ffffc, v1
	v_mul_f32_e32 v2, 0x2f800000, v1
	v_trunc_f32_e32 v2, v2
	v_madmk_f32 v1, v2, 0xcf800000, v1
	v_cvt_u32_f32_e32 v2, v2
	v_cvt_u32_f32_e32 v1, v1
	v_readfirstlane_b32 s19, v2
	v_readfirstlane_b32 s14, v1
	s_mul_i32 s15, s12, s19
	s_mul_hi_u32 s21, s12, s14
	s_mul_i32 s20, s18, s14
	s_add_i32 s15, s21, s15
	s_add_i32 s15, s15, s20
	s_mul_i32 s23, s12, s14
	s_mul_i32 s21, s14, s15
	s_mul_hi_u32 s24, s14, s23
	s_mul_hi_u32 s20, s14, s15
	s_add_u32 s21, s24, s21
	s_addc_u32 s20, 0, s20
	s_mul_hi_u32 s25, s19, s23
	s_mul_i32 s23, s19, s23
	s_add_u32 s21, s21, s23
	s_mul_hi_u32 s24, s19, s15
	s_addc_u32 s20, s20, s25
	s_addc_u32 s21, s24, 0
	s_mul_i32 s15, s19, s15
	s_add_u32 s15, s20, s15
	s_addc_u32 s20, 0, s21
	s_add_u32 s21, s14, s15
	s_cselect_b64 s[14:15], -1, 0
	s_cmp_lg_u64 s[14:15], 0
	s_addc_u32 s19, s19, s20
	s_mul_i32 s14, s12, s19
	s_mul_hi_u32 s15, s12, s21
	s_add_i32 s14, s15, s14
	s_mul_i32 s18, s18, s21
	s_add_i32 s14, s14, s18
	s_mul_i32 s12, s12, s21
	s_mul_hi_u32 s18, s19, s12
	s_mul_i32 s20, s19, s12
	s_mul_i32 s24, s21, s14
	s_mul_hi_u32 s12, s21, s12
	s_mul_hi_u32 s23, s21, s14
	s_add_u32 s12, s12, s24
	s_addc_u32 s23, 0, s23
	s_add_u32 s12, s12, s20
	s_mul_hi_u32 s15, s19, s14
	s_addc_u32 s12, s23, s18
	s_addc_u32 s15, s15, 0
	s_mul_i32 s14, s19, s14
	s_add_u32 s12, s12, s14
	s_addc_u32 s18, 0, s15
	s_add_u32 s20, s21, s12
	s_cselect_b64 s[14:15], -1, 0
	s_cmp_lg_u64 s[14:15], 0
	s_addc_u32 s18, s19, s18
	s_ashr_i32 s14, s13, 31
	s_add_u32 s12, s9, s14
	s_mov_b32 s15, s14
	s_addc_u32 s13, s13, s14
	s_xor_b64 s[12:13], s[12:13], s[14:15]
	s_mul_i32 s21, s12, s18
	s_mul_hi_u32 s23, s12, s20
	s_mul_hi_u32 s19, s12, s18
	s_add_u32 s21, s23, s21
	s_addc_u32 s19, 0, s19
	s_mul_hi_u32 s24, s13, s20
	s_mul_i32 s20, s13, s20
	s_add_u32 s20, s21, s20
	s_mul_hi_u32 s23, s13, s18
	s_addc_u32 s19, s19, s24
	s_addc_u32 s20, s23, 0
	s_mul_i32 s18, s13, s18
	s_add_u32 s23, s19, s18
	s_addc_u32 s24, 0, s20
	s_mul_i32 s18, s10, s24
	s_mul_hi_u32 s19, s10, s23
	s_add_i32 s18, s19, s18
	s_mul_i32 s19, s11, s23
	s_add_i32 s25, s18, s19
	s_sub_i32 s20, s13, s25
	s_mul_i32 s18, s10, s23
	s_sub_u32 s12, s12, s18
	s_cselect_b64 s[18:19], -1, 0
	s_cmp_lg_u64 s[18:19], 0
	s_subb_u32 s26, s20, s11
	s_sub_u32 s27, s12, s10
	s_cselect_b64 s[20:21], -1, 0
	s_cmp_lg_u64 s[20:21], 0
	s_subb_u32 s20, s26, 0
	s_cmp_ge_u32 s20, s11
	s_cselect_b32 s21, -1, 0
	s_cmp_ge_u32 s27, s10
	s_cselect_b32 s26, -1, 0
	s_cmp_eq_u32 s20, s11
	s_cselect_b32 s20, s26, s21
	s_add_u32 s21, s23, 1
	s_addc_u32 s26, s24, 0
	s_add_u32 s27, s23, 2
	s_addc_u32 s28, s24, 0
	s_cmp_lg_u32 s20, 0
	s_cselect_b32 s20, s27, s21
	s_cselect_b32 s21, s28, s26
	s_cmp_lg_u64 s[18:19], 0
	s_subb_u32 s13, s13, s25
	s_cmp_ge_u32 s13, s11
	s_cselect_b32 s18, -1, 0
	s_cmp_ge_u32 s12, s10
	s_cselect_b32 s10, -1, 0
	s_cmp_eq_u32 s13, s11
	s_cselect_b32 s10, s10, s18
	s_cmp_lg_u32 s10, 0
	s_cselect_b32 s11, s21, s24
	s_cselect_b32 s10, s20, s23
	s_xor_b64 s[12:13], s[14:15], 0
	s_xor_b64 s[10:11], s[10:11], s[12:13]
	s_sub_u32 s10, s10, s12
	s_load_dwordx4 s[12:15], s[4:5], 0x44
	s_cbranch_execnz .LBB3_3
.LBB3_2:
	v_cvt_f32_u32_e32 v1, s22
	s_sub_i32 s10, 0, s22
	v_rcp_iflag_f32_e32 v1, v1
	v_mul_f32_e32 v1, 0x4f7ffffe, v1
	v_cvt_u32_f32_e32 v1, v1
	v_readfirstlane_b32 s11, v1
	s_mul_i32 s10, s10, s11
	s_mul_hi_u32 s10, s11, s10
	s_add_i32 s11, s11, s10
	s_mul_hi_u32 s10, s9, s11
	s_waitcnt lgkmcnt(0)
	s_mul_i32 s15, s10, s22
	s_sub_i32 s9, s9, s15
	s_add_i32 s11, s10, 1
	s_sub_i32 s15, s9, s22
	s_cmp_ge_u32 s9, s22
	s_cselect_b32 s10, s11, s10
	s_cselect_b32 s9, s15, s9
	s_add_i32 s11, s10, 1
	s_cmp_ge_u32 s9, s22
	s_cselect_b32 s10, s11, s10
.LBB3_3:
	s_add_i32 s9, s6, 1
	s_mul_hi_i32 s21, s3, s9
	s_mov_b32 s20, 0
	s_cmp_lg_u64 s[20:21], 0
	s_mul_i32 s9, s3, s9
	s_cbranch_scc0 .LBB3_21
; %bb.4:
	s_add_u32 s16, s22, 0
	s_addc_u32 s17, 0, 0
	s_xor_b64 s[18:19], s[16:17], 0
	v_cvt_f32_u32_e32 v1, s18
	v_cvt_f32_u32_e32 v2, s19
	s_sub_u32 s11, 0, s18
	s_waitcnt lgkmcnt(0)
	s_subb_u32 s15, 0, s19
	v_madmk_f32 v1, v2, 0x4f800000, v1
	v_rcp_f32_e32 v1, v1
	v_mul_f32_e32 v1, 0x5f7ffffc, v1
	v_mul_f32_e32 v2, 0x2f800000, v1
	v_trunc_f32_e32 v2, v2
	v_madmk_f32 v1, v2, 0xcf800000, v1
	v_cvt_u32_f32_e32 v2, v2
	v_cvt_u32_f32_e32 v1, v1
	v_readfirstlane_b32 s20, v2
	v_readfirstlane_b32 s23, v1
	s_mul_i32 s24, s11, s20
	s_mul_hi_u32 s26, s11, s23
	s_mul_i32 s25, s15, s23
	s_add_i32 s24, s26, s24
	s_add_i32 s24, s24, s25
	s_mul_i32 s27, s11, s23
	s_mul_i32 s26, s23, s24
	s_mul_hi_u32 s28, s23, s27
	s_mul_hi_u32 s25, s23, s24
	s_add_u32 s26, s28, s26
	s_addc_u32 s25, 0, s25
	s_mul_hi_u32 s29, s20, s27
	s_mul_i32 s27, s20, s27
	s_add_u32 s26, s26, s27
	s_mul_hi_u32 s28, s20, s24
	s_addc_u32 s25, s25, s29
	s_addc_u32 s26, s28, 0
	s_mul_i32 s24, s20, s24
	s_add_u32 s24, s25, s24
	s_addc_u32 s26, 0, s26
	s_add_u32 s23, s23, s24
	s_cselect_b64 s[24:25], -1, 0
	s_cmp_lg_u64 s[24:25], 0
	s_addc_u32 s20, s20, s26
	s_mul_i32 s24, s11, s20
	s_mul_hi_u32 s25, s11, s23
	s_add_i32 s24, s25, s24
	s_mul_i32 s15, s15, s23
	s_add_i32 s24, s24, s15
	s_mul_i32 s11, s11, s23
	s_mul_hi_u32 s25, s20, s11
	s_mul_i32 s26, s20, s11
	s_mul_i32 s28, s23, s24
	s_mul_hi_u32 s11, s23, s11
	s_mul_hi_u32 s27, s23, s24
	s_add_u32 s11, s11, s28
	s_addc_u32 s27, 0, s27
	s_add_u32 s11, s11, s26
	s_mul_hi_u32 s15, s20, s24
	s_addc_u32 s11, s27, s25
	s_addc_u32 s15, s15, 0
	s_mul_i32 s24, s20, s24
	s_add_u32 s11, s11, s24
	s_addc_u32 s15, 0, s15
	s_add_u32 s11, s23, s11
	s_cselect_b64 s[24:25], -1, 0
	s_cmp_lg_u64 s[24:25], 0
	s_addc_u32 s15, s20, s15
	s_ashr_i32 s24, s21, 31
	s_add_u32 s20, s9, s24
	s_mov_b32 s25, s24
	s_addc_u32 s21, s21, s24
	s_xor_b64 s[20:21], s[20:21], s[24:25]
	s_mul_i32 s26, s20, s15
	s_mul_hi_u32 s27, s20, s11
	s_mul_hi_u32 s23, s20, s15
	s_add_u32 s26, s27, s26
	s_addc_u32 s23, 0, s23
	s_mul_hi_u32 s28, s21, s11
	s_mul_i32 s11, s21, s11
	s_add_u32 s11, s26, s11
	s_mul_hi_u32 s27, s21, s15
	s_addc_u32 s11, s23, s28
	s_addc_u32 s23, s27, 0
	s_mul_i32 s15, s21, s15
	s_add_u32 s11, s11, s15
	s_addc_u32 s15, 0, s23
	s_mul_i32 s23, s18, s15
	s_mul_hi_u32 s26, s18, s11
	s_add_i32 s23, s26, s23
	s_mul_i32 s26, s19, s11
	s_add_i32 s23, s23, s26
	s_sub_i32 s28, s21, s23
	s_mul_i32 s26, s18, s11
	s_sub_u32 s20, s20, s26
	s_cselect_b64 s[26:27], -1, 0
	s_cmp_lg_u64 s[26:27], 0
	s_subb_u32 s30, s28, s19
	s_sub_u32 s31, s20, s18
	s_cselect_b64 s[28:29], -1, 0
	s_cmp_lg_u64 s[28:29], 0
	s_subb_u32 s28, s30, 0
	s_cmp_ge_u32 s28, s19
	s_cselect_b32 s29, -1, 0
	s_cmp_ge_u32 s31, s18
	s_cselect_b32 s30, -1, 0
	s_cmp_eq_u32 s28, s19
	s_cselect_b32 s28, s30, s29
	s_add_u32 s29, s11, 1
	s_addc_u32 s30, s15, 0
	s_add_u32 s31, s11, 2
	s_addc_u32 s33, s15, 0
	s_cmp_lg_u32 s28, 0
	s_cselect_b32 s28, s31, s29
	s_cselect_b32 s29, s33, s30
	s_cmp_lg_u64 s[26:27], 0
	s_subb_u32 s21, s21, s23
	s_cmp_ge_u32 s21, s19
	s_cselect_b32 s23, -1, 0
	s_cmp_ge_u32 s20, s18
	s_cselect_b32 s18, -1, 0
	s_cmp_eq_u32 s21, s19
	s_cselect_b32 s18, s18, s23
	s_cmp_lg_u32 s18, 0
	s_cselect_b32 s19, s29, s15
	s_cselect_b32 s18, s28, s11
	s_xor_b64 s[20:21], s[24:25], 0
	s_xor_b64 s[18:19], s[18:19], s[20:21]
	s_sub_u32 s18, s18, s20
	s_cbranch_execnz .LBB3_6
.LBB3_5:
	v_cvt_f32_u32_e32 v1, s22
	s_sub_i32 s11, 0, s22
	v_rcp_iflag_f32_e32 v1, v1
	v_mul_f32_e32 v1, 0x4f7ffffe, v1
	v_cvt_u32_f32_e32 v1, v1
	s_waitcnt lgkmcnt(0)
	v_readfirstlane_b32 s15, v1
	s_mul_i32 s11, s11, s15
	s_mul_hi_u32 s11, s15, s11
	s_add_i32 s15, s15, s11
	s_mul_hi_u32 s11, s9, s15
	s_mul_i32 s16, s11, s22
	s_sub_i32 s9, s9, s16
	s_add_i32 s15, s11, 1
	s_sub_i32 s16, s9, s22
	s_cmp_ge_u32 s9, s22
	s_cselect_b32 s11, s15, s11
	s_cselect_b32 s9, s16, s9
	s_add_i32 s15, s11, 1
	s_cmp_ge_u32 s9, s22
	s_cselect_b32 s18, s15, s11
.LBB3_6:
	s_cmp_eq_u32 s10, s18
	s_waitcnt lgkmcnt(0)
	s_mul_hi_u32 s9, s10, s12
	s_cselect_b64 s[16:17], -1, 0
	s_add_i32 s9, s9, s10
	s_lshr_b32 s11, s9, s13
	s_mul_i32 s9, s11, s14
	s_cmp_eq_u32 s9, s10
	s_mul_hi_u32 s9, s18, s12
	s_cselect_b64 s[20:21], -1, 0
	s_add_i32 s9, s9, s18
	s_lshr_b32 s9, s9, s13
	s_cmp_eq_u32 s11, s9
	s_mul_i32 s9, s9, s14
	s_cselect_b64 s[24:25], -1, 0
	s_cmp_lg_u32 s9, s18
	s_cselect_b64 s[18:19], -1, 0
	s_and_b64 s[18:19], s[24:25], s[18:19]
	s_or_b64 s[16:17], s[16:17], s[20:21]
	s_or_b64 s[16:17], s[16:17], s[18:19]
	s_and_b64 vcc, exec, s[16:17]
	s_cbranch_vccnz .LBB3_23
; %bb.7:
	s_load_dwordx8 s[24:31], s[4:5], 0x20
	s_load_dword s15, s[4:5], 0x40
	s_waitcnt lgkmcnt(0)
	s_mul_hi_u32 s9, s10, s24
	s_add_i32 s9, s9, s10
	s_lshr_b32 s9, s9, s25
	s_mul_i32 s16, s9, s26
	s_sub_i32 s16, s10, s16
	s_mul_hi_u32 s17, s16, s27
	s_add_i32 s17, s16, s17
	s_lshr_b32 s23, s17, s28
	s_mul_i32 s17, s23, s29
	s_sub_i32 s16, s16, s17
	;; [unrolled: 5-line block ×3, first 2 shown]
	s_mul_hi_u32 s16, s15, s12
	s_add_i32 s15, s15, s16
	s_lshr_b32 s25, s15, s13
	s_lshl_b32 s15, s25, 1
	s_lshl_b32 s24, s17, 4
	s_add_i32 s15, s15, s7
	s_cmp_lt_i32 s15, s0
	s_cselect_b64 s[16:17], -1, 0
	s_add_i32 s15, s24, s8
	s_cmp_lt_i32 s15, s2
	s_cselect_b64 s[18:19], -1, 0
	s_and_b64 s[16:17], s[16:17], s[18:19]
	s_andn2_b64 vcc, exec, s[16:17]
	s_cbranch_vccnz .LBB3_23
; %bb.8:
	s_load_dwordx4 s[16:19], s[4:5], 0x0
	s_mov_b32 s4, 0
	s_lshl_b32 s15, s7, 4
	s_lshl_b32 s20, s22, 7
	s_mov_b32 s21, s4
	s_add_i32 s15, s15, s8
	s_lshl_b64 s[20:21], s[20:21], 2
	s_waitcnt lgkmcnt(0)
	s_add_u32 s20, s18, s20
	s_mul_i32 s0, s9, s0
	s_addc_u32 s21, s19, s21
	s_add_i32 s0, s0, s7
	s_mul_i32 s0, s0, s1
	s_mul_i32 s23, s23, s2
	s_add_i32 s0, s0, s8
	s_add_i32 s0, s0, s23
	s_mul_i32 s2, s1, s25
	s_add_i32 s0, s0, s24
	s_lshl_b32 s2, s2, 10
	s_lshl_b32 s0, s0, 9
	s_add_i32 s2, s2, s0
	v_or_b32_e32 v1, s2, v0
	v_ashrrev_i32_e32 v2, 31, v1
	v_lshlrev_b64 v[1:2], 2, v[1:2]
	v_mov_b32_e32 v3, s17
	v_add_co_u32_e32 v1, vcc, s16, v1
	v_addc_co_u32_e32 v2, vcc, v3, v2, vcc
	global_load_dword v3, v[1:2], off
	v_cvt_f32_u32_e32 v4, s22
	s_lshl_b32 s0, s6, 5
	s_add_i32 s0, s15, s0
	s_ashr_i32 s1, s0, 31
	s_lshl_b64 s[0:1], s[0:1], 3
	v_rcp_iflag_f32_e32 v4, v4
	s_add_u32 s0, s18, s0
	s_addc_u32 s1, s19, s1
	s_load_dwordx2 s[0:1], s[0:1], 0x0
	v_mul_f32_e32 v4, 0x4f7ffffe, v4
	v_cvt_u32_f32_e32 v4, v4
	s_add_i32 s24, s6, -1
	v_lshl_or_b32 v0, s15, 9, v0
	s_waitcnt lgkmcnt(0)
	v_mov_b32_e32 v6, s1
	v_mov_b32_e32 v7, s0
	s_mov_b32 s2, 0x3fb8aa3b
	s_mov_b32 s16, 0xc2ce8ed0
	;; [unrolled: 1-line block ×4, first 2 shown]
	v_mov_b32_e32 v5, 0x7f800000
	s_mul_hi_i32 s5, s24, s3
	s_cmp_lg_u64 s[4:5], 0
	s_mul_i32 s8, s24, s3
	s_cbranch_scc0 .LBB3_19
.LBB3_9:
	s_add_u32 s0, s22, 0
	s_addc_u32 s1, 0, 0
	s_xor_b64 s[0:1], s[0:1], 0
	v_cvt_f32_u32_e32 v8, s0
	v_cvt_f32_u32_e32 v9, s1
	s_sub_u32 s9, 0, s0
	s_subb_u32 s25, 0, s1
	v_mac_f32_e32 v8, 0x4f800000, v9
	v_rcp_f32_e32 v8, v8
	v_mul_f32_e32 v8, 0x5f7ffffc, v8
	v_mul_f32_e32 v9, 0x2f800000, v8
	v_trunc_f32_e32 v9, v9
	v_mac_f32_e32 v8, 0xcf800000, v9
	v_cvt_u32_f32_e32 v9, v9
	v_cvt_u32_f32_e32 v8, v8
	v_readfirstlane_b32 s26, v9
	v_readfirstlane_b32 s6, v8
	s_mul_i32 s7, s9, s26
	s_mul_hi_u32 s28, s9, s6
	s_mul_i32 s27, s25, s6
	s_add_i32 s7, s28, s7
	s_mul_i32 s29, s9, s6
	s_add_i32 s7, s7, s27
	s_mul_i32 s28, s6, s7
	s_mul_hi_u32 s30, s6, s29
	s_mul_hi_u32 s27, s6, s7
	s_add_u32 s28, s30, s28
	s_addc_u32 s27, 0, s27
	s_mul_hi_u32 s31, s26, s29
	s_mul_i32 s29, s26, s29
	s_add_u32 s28, s28, s29
	s_mul_hi_u32 s30, s26, s7
	s_addc_u32 s27, s27, s31
	s_addc_u32 s28, s30, 0
	s_mul_i32 s7, s26, s7
	s_add_u32 s7, s27, s7
	s_addc_u32 s27, 0, s28
	s_add_u32 s28, s6, s7
	s_cselect_b64 s[6:7], -1, 0
	s_cmp_lg_u64 s[6:7], 0
	s_addc_u32 s26, s26, s27
	s_mul_i32 s6, s9, s26
	s_mul_hi_u32 s7, s9, s28
	s_add_i32 s6, s7, s6
	s_mul_i32 s25, s25, s28
	s_add_i32 s6, s6, s25
	s_mul_i32 s9, s9, s28
	s_mul_hi_u32 s25, s26, s9
	s_mul_i32 s27, s26, s9
	s_mul_i32 s30, s28, s6
	s_mul_hi_u32 s9, s28, s9
	s_mul_hi_u32 s29, s28, s6
	s_add_u32 s9, s9, s30
	s_addc_u32 s29, 0, s29
	s_add_u32 s9, s9, s27
	s_mul_hi_u32 s7, s26, s6
	s_addc_u32 s9, s29, s25
	s_addc_u32 s7, s7, 0
	s_mul_i32 s6, s26, s6
	s_add_u32 s6, s9, s6
	s_addc_u32 s9, 0, s7
	s_add_u32 s25, s28, s6
	s_cselect_b64 s[6:7], -1, 0
	s_cmp_lg_u64 s[6:7], 0
	s_addc_u32 s9, s26, s9
	s_ashr_i32 s6, s5, 31
	s_add_u32 s26, s8, s6
	s_mov_b32 s7, s6
	s_addc_u32 s27, s5, s6
	s_xor_b64 s[26:27], s[26:27], s[6:7]
	s_mul_i32 s28, s26, s9
	s_mul_hi_u32 s29, s26, s25
	s_mul_hi_u32 s5, s26, s9
	s_add_u32 s28, s29, s28
	s_addc_u32 s5, 0, s5
	s_mul_hi_u32 s30, s27, s25
	s_mul_i32 s25, s27, s25
	s_add_u32 s25, s28, s25
	s_mul_hi_u32 s29, s27, s9
	s_addc_u32 s5, s5, s30
	s_addc_u32 s25, s29, 0
	s_mul_i32 s9, s27, s9
	s_add_u32 s5, s5, s9
	s_addc_u32 s9, 0, s25
	s_mul_i32 s25, s0, s9
	s_mul_hi_u32 s28, s0, s5
	s_add_i32 s25, s28, s25
	s_mul_i32 s28, s1, s5
	s_add_i32 s25, s25, s28
	s_sub_i32 s30, s27, s25
	s_mul_i32 s28, s0, s5
	s_sub_u32 s26, s26, s28
	s_cselect_b64 s[28:29], -1, 0
	s_cmp_lg_u64 s[28:29], 0
	s_subb_u32 s33, s30, s1
	s_sub_u32 s34, s26, s0
	s_cselect_b64 s[30:31], -1, 0
	s_cmp_lg_u64 s[30:31], 0
	s_subb_u32 s30, s33, 0
	s_cmp_ge_u32 s30, s1
	s_cselect_b32 s31, -1, 0
	s_cmp_ge_u32 s34, s0
	s_cselect_b32 s33, -1, 0
	s_cmp_eq_u32 s30, s1
	s_cselect_b32 s30, s33, s31
	s_add_u32 s31, s5, 1
	s_addc_u32 s33, s9, 0
	s_add_u32 s34, s5, 2
	s_addc_u32 s35, s9, 0
	s_cmp_lg_u32 s30, 0
	s_cselect_b32 s30, s34, s31
	s_cselect_b32 s31, s35, s33
	s_cmp_lg_u64 s[28:29], 0
	s_subb_u32 s25, s27, s25
	s_cmp_ge_u32 s25, s1
	s_cselect_b32 s27, -1, 0
	s_cmp_ge_u32 s26, s0
	s_cselect_b32 s0, -1, 0
	s_cmp_eq_u32 s25, s1
	s_cselect_b32 s0, s0, s27
	s_cmp_lg_u32 s0, 0
	s_cselect_b32 s1, s31, s9
	s_cselect_b32 s0, s30, s5
	s_xor_b64 s[6:7], s[6:7], 0
	s_xor_b64 s[0:1], s[0:1], s[6:7]
	s_sub_u32 s6, s0, s6
	s_cbranch_execnz .LBB3_11
.LBB3_10:
	s_sub_i32 s0, 0, s22
	v_readfirstlane_b32 s1, v4
	s_mul_i32 s0, s0, s1
	s_mul_hi_u32 s0, s1, s0
	s_add_i32 s1, s1, s0
	s_mul_hi_u32 s0, s8, s1
	s_mul_i32 s5, s0, s22
	s_sub_i32 s5, s8, s5
	s_add_i32 s1, s0, 1
	s_sub_i32 s6, s5, s22
	s_cmp_ge_u32 s5, s22
	s_cselect_b32 s0, s1, s0
	s_cselect_b32 s5, s6, s5
	s_add_i32 s1, s0, 1
	s_cmp_ge_u32 s5, s22
	s_cselect_b32 s6, s1, s0
.LBB3_11:
	s_cmp_lg_u32 s10, s6
	s_mov_b64 s[8:9], -1
                                        ; implicit-def: $sgpr0_sgpr1
                                        ; implicit-def: $vgpr10
                                        ; implicit-def: $vgpr8
                                        ; implicit-def: $vgpr9
                                        ; implicit-def: $sgpr5
                                        ; implicit-def: $sgpr7
	s_cbranch_scc1 .LBB3_14
; %bb.12:
	s_andn2_b64 vcc, exec, s[8:9]
	s_cbranch_vccz .LBB3_17
.LBB3_13:
	s_andn2_b64 vcc, exec, s[0:1]
	s_cbranch_vccnz .LBB3_18
	s_branch .LBB3_22
.LBB3_14:
	s_add_i32 s0, s24, s22
	s_lshl_b32 s0, s0, 5
	s_add_i32 s0, s0, s15
	s_mov_b32 s1, s4
	s_lshl_b64 s[0:1], s[0:1], 3
	s_add_u32 s8, s18, s0
	s_mul_hi_u32 s0, s6, s12
	s_addc_u32 s9, s19, s1
	s_add_i32 s0, s0, s6
	s_lshr_b32 s5, s0, s13
	s_mul_i32 s0, s5, s14
	s_cmp_eq_u32 s0, s6
	s_cselect_b64 s[0:1], -1, 0
	s_cmp_lt_u32 s5, s11
	s_cselect_b64 s[26:27], -1, 0
	s_or_b64 s[26:27], s[26:27], s[0:1]
	s_mov_b64 s[0:1], -1
	s_and_b64 vcc, exec, s[26:27]
	s_mov_b32 s5, s24
	s_mov_b32 s7, s10
	s_cbranch_vccnz .LBB3_16
; %bb.15:
	s_add_i32 s5, s24, -1
	s_mov_b64 s[0:1], 0
	s_mov_b32 s7, s6
.LBB3_16:
	v_lshl_add_u32 v8, s24, 14, v0
	v_ashrrev_i32_e32 v9, 31, v8
	v_lshlrev_b64 v[8:9], 2, v[8:9]
	v_mov_b32_e32 v10, s21
	v_add_co_u32_e32 v8, vcc, s20, v8
	v_addc_co_u32_e32 v9, vcc, v10, v9, vcc
	global_load_dword v10, v[8:9], off
	s_load_dwordx2 s[8:9], s[8:9], 0x0
	v_max_f32_e32 v8, v7, v7
	s_waitcnt lgkmcnt(0)
	v_max_f32_e64 v9, s8, s8
	v_max_f32_e32 v8, v8, v9
	v_sub_f32_e32 v9, v7, v8
	v_sub_f32_e32 v11, s8, v8
	v_mul_f32_e32 v12, 0x3fb8aa3b, v9
	v_mul_f32_e32 v13, 0x3fb8aa3b, v11
	v_fma_f32 v14, v9, s2, -v12
	v_rndne_f32_e32 v15, v12
	v_fma_f32 v16, v11, s2, -v13
	v_rndne_f32_e32 v17, v13
	v_fmac_f32_e32 v14, 0x32a5705f, v9
	v_sub_f32_e32 v12, v12, v15
	v_fmac_f32_e32 v16, 0x32a5705f, v11
	v_sub_f32_e32 v13, v13, v17
	v_add_f32_e32 v12, v12, v14
	v_cvt_i32_f32_e32 v15, v15
	v_add_f32_e32 v13, v13, v16
	v_exp_f32_e32 v12, v12
	v_cvt_i32_f32_e32 v17, v17
	v_exp_f32_e32 v13, v13
	v_cmp_ngt_f32_e32 vcc, s16, v9
	v_ldexp_f32 v12, v12, v15
	v_cndmask_b32_e32 v12, 0, v12, vcc
	v_ldexp_f32 v13, v13, v17
	v_cmp_ngt_f32_e32 vcc, s16, v11
	v_cndmask_b32_e32 v13, 0, v13, vcc
	v_cmp_nlt_f32_e32 vcc, s17, v9
	v_cndmask_b32_e32 v12, v5, v12, vcc
	v_cmp_nlt_f32_e32 vcc, s17, v11
	v_cndmask_b32_e32 v13, v5, v13, vcc
	v_cmp_le_f32_e32 vcc, s23, v9
	v_cndmask_b32_e32 v12, 0, v12, vcc
	v_cmp_le_f32_e32 vcc, s23, v11
	v_cndmask_b32_e32 v11, 0, v13, vcc
	v_mul_f32_e32 v9, s9, v11
	v_fmac_f32_e32 v9, v6, v12
	s_waitcnt vmcnt(0)
	v_mul_f32_e32 v10, v10, v11
	v_fmac_f32_e32 v10, v3, v12
	s_cbranch_execnz .LBB3_13
.LBB3_17:
	s_add_i32 s5, s24, -1
	s_mov_b32 s7, s10
	v_mov_b32_e32 v9, v6
	v_mov_b32_e32 v8, v7
	s_waitcnt vmcnt(0)
	v_mov_b32_e32 v10, v3
	s_cbranch_execz .LBB3_22
.LBB3_18:
	s_mov_b32 s10, s7
	s_mov_b32 s24, s5
	v_mov_b32_e32 v6, v9
	v_mov_b32_e32 v7, v8
	s_waitcnt vmcnt(0)
	v_mov_b32_e32 v3, v10
	s_mul_hi_i32 s5, s24, s3
	s_cmp_lg_u64 s[4:5], 0
	s_mul_i32 s8, s24, s3
	s_cbranch_scc1 .LBB3_9
.LBB3_19:
                                        ; implicit-def: $sgpr6_sgpr7
	s_branch .LBB3_10
.LBB3_20:
                                        ; implicit-def: $sgpr10_sgpr11
	s_load_dwordx4 s[12:15], s[4:5], 0x44
	s_branch .LBB3_2
.LBB3_21:
                                        ; implicit-def: $sgpr18_sgpr19
	s_branch .LBB3_5
.LBB3_22:
	v_div_scale_f32 v0, s[0:1], v9, v9, v10
	s_waitcnt vmcnt(0)
	v_div_scale_f32 v3, vcc, v10, v9, v10
	v_rcp_f32_e32 v4, v0
	v_fma_f32 v5, -v0, v4, 1.0
	v_fmac_f32_e32 v4, v5, v4
	v_mul_f32_e32 v5, v3, v4
	v_fma_f32 v6, -v0, v5, v3
	v_fmac_f32_e32 v5, v6, v4
	v_fma_f32 v0, -v0, v5, v3
	v_div_fmas_f32 v0, v0, v4, v5
	v_div_fixup_f32 v0, v0, v9, v10
	global_store_dword v[1:2], v0, off
.LBB3_23:
	s_endpgm
	.section	.rodata,"a",@progbits
	.p2align	6, 0x0
	.amdhsa_kernel _ZL33flash_attn_stream_k_fixup_generalILi512ELi2ELi16EEvPfPK15HIP_vector_typeIfLj2EEiiiiS1_IjLj3EES5_S5_S5_
		.amdhsa_group_segment_fixed_size 0
		.amdhsa_private_segment_fixed_size 0
		.amdhsa_kernarg_size 336
		.amdhsa_user_sgpr_count 6
		.amdhsa_user_sgpr_private_segment_buffer 1
		.amdhsa_user_sgpr_dispatch_ptr 0
		.amdhsa_user_sgpr_queue_ptr 0
		.amdhsa_user_sgpr_kernarg_segment_ptr 1
		.amdhsa_user_sgpr_dispatch_id 0
		.amdhsa_user_sgpr_flat_scratch_init 0
		.amdhsa_user_sgpr_private_segment_size 0
		.amdhsa_uses_dynamic_stack 0
		.amdhsa_system_sgpr_private_segment_wavefront_offset 0
		.amdhsa_system_sgpr_workgroup_id_x 1
		.amdhsa_system_sgpr_workgroup_id_y 1
		.amdhsa_system_sgpr_workgroup_id_z 1
		.amdhsa_system_sgpr_workgroup_info 0
		.amdhsa_system_vgpr_workitem_id 0
		.amdhsa_next_free_vgpr 18
		.amdhsa_next_free_sgpr 36
		.amdhsa_reserve_vcc 1
		.amdhsa_reserve_flat_scratch 0
		.amdhsa_float_round_mode_32 0
		.amdhsa_float_round_mode_16_64 0
		.amdhsa_float_denorm_mode_32 3
		.amdhsa_float_denorm_mode_16_64 3
		.amdhsa_dx10_clamp 1
		.amdhsa_ieee_mode 1
		.amdhsa_fp16_overflow 0
		.amdhsa_exception_fp_ieee_invalid_op 0
		.amdhsa_exception_fp_denorm_src 0
		.amdhsa_exception_fp_ieee_div_zero 0
		.amdhsa_exception_fp_ieee_overflow 0
		.amdhsa_exception_fp_ieee_underflow 0
		.amdhsa_exception_fp_ieee_inexact 0
		.amdhsa_exception_int_div_zero 0
	.end_amdhsa_kernel
	.section	.text._ZL33flash_attn_stream_k_fixup_generalILi512ELi2ELi16EEvPfPK15HIP_vector_typeIfLj2EEiiiiS1_IjLj3EES5_S5_S5_,"axG",@progbits,_ZL33flash_attn_stream_k_fixup_generalILi512ELi2ELi16EEvPfPK15HIP_vector_typeIfLj2EEiiiiS1_IjLj3EES5_S5_S5_,comdat
.Lfunc_end3:
	.size	_ZL33flash_attn_stream_k_fixup_generalILi512ELi2ELi16EEvPfPK15HIP_vector_typeIfLj2EEiiiiS1_IjLj3EES5_S5_S5_, .Lfunc_end3-_ZL33flash_attn_stream_k_fixup_generalILi512ELi2ELi16EEvPfPK15HIP_vector_typeIfLj2EEiiiiS1_IjLj3EES5_S5_S5_
                                        ; -- End function
	.set _ZL33flash_attn_stream_k_fixup_generalILi512ELi2ELi16EEvPfPK15HIP_vector_typeIfLj2EEiiiiS1_IjLj3EES5_S5_S5_.num_vgpr, 18
	.set _ZL33flash_attn_stream_k_fixup_generalILi512ELi2ELi16EEvPfPK15HIP_vector_typeIfLj2EEiiiiS1_IjLj3EES5_S5_S5_.num_agpr, 0
	.set _ZL33flash_attn_stream_k_fixup_generalILi512ELi2ELi16EEvPfPK15HIP_vector_typeIfLj2EEiiiiS1_IjLj3EES5_S5_S5_.numbered_sgpr, 36
	.set _ZL33flash_attn_stream_k_fixup_generalILi512ELi2ELi16EEvPfPK15HIP_vector_typeIfLj2EEiiiiS1_IjLj3EES5_S5_S5_.num_named_barrier, 0
	.set _ZL33flash_attn_stream_k_fixup_generalILi512ELi2ELi16EEvPfPK15HIP_vector_typeIfLj2EEiiiiS1_IjLj3EES5_S5_S5_.private_seg_size, 0
	.set _ZL33flash_attn_stream_k_fixup_generalILi512ELi2ELi16EEvPfPK15HIP_vector_typeIfLj2EEiiiiS1_IjLj3EES5_S5_S5_.uses_vcc, 1
	.set _ZL33flash_attn_stream_k_fixup_generalILi512ELi2ELi16EEvPfPK15HIP_vector_typeIfLj2EEiiiiS1_IjLj3EES5_S5_S5_.uses_flat_scratch, 0
	.set _ZL33flash_attn_stream_k_fixup_generalILi512ELi2ELi16EEvPfPK15HIP_vector_typeIfLj2EEiiiiS1_IjLj3EES5_S5_S5_.has_dyn_sized_stack, 0
	.set _ZL33flash_attn_stream_k_fixup_generalILi512ELi2ELi16EEvPfPK15HIP_vector_typeIfLj2EEiiiiS1_IjLj3EES5_S5_S5_.has_recursion, 0
	.set _ZL33flash_attn_stream_k_fixup_generalILi512ELi2ELi16EEvPfPK15HIP_vector_typeIfLj2EEiiiiS1_IjLj3EES5_S5_S5_.has_indirect_call, 0
	.section	.AMDGPU.csdata,"",@progbits
; Kernel info:
; codeLenInByte = 2940
; TotalNumSgprs: 40
; NumVgprs: 18
; ScratchSize: 0
; MemoryBound: 0
; FloatMode: 240
; IeeeMode: 1
; LDSByteSize: 0 bytes/workgroup (compile time only)
; SGPRBlocks: 4
; VGPRBlocks: 4
; NumSGPRsForWavesPerEU: 40
; NumVGPRsForWavesPerEU: 18
; Occupancy: 10
; WaveLimiterHint : 0
; COMPUTE_PGM_RSRC2:SCRATCH_EN: 0
; COMPUTE_PGM_RSRC2:USER_SGPR: 6
; COMPUTE_PGM_RSRC2:TRAP_HANDLER: 0
; COMPUTE_PGM_RSRC2:TGID_X_EN: 1
; COMPUTE_PGM_RSRC2:TGID_Y_EN: 1
; COMPUTE_PGM_RSRC2:TGID_Z_EN: 1
; COMPUTE_PGM_RSRC2:TIDIG_COMP_CNT: 0
	.section	.text._ZL26flash_attn_combine_resultsILi512EEvPKfPK15HIP_vector_typeIfLj2EEPfi,"axG",@progbits,_ZL26flash_attn_combine_resultsILi512EEvPKfPK15HIP_vector_typeIfLj2EEPfi,comdat
	.globl	_ZL26flash_attn_combine_resultsILi512EEvPKfPK15HIP_vector_typeIfLj2EEPfi ; -- Begin function _ZL26flash_attn_combine_resultsILi512EEvPKfPK15HIP_vector_typeIfLj2EEPfi
	.p2align	8
	.type	_ZL26flash_attn_combine_resultsILi512EEvPKfPK15HIP_vector_typeIfLj2EEPfi,@function
_ZL26flash_attn_combine_resultsILi512EEvPKfPK15HIP_vector_typeIfLj2EEPfi: ; @_ZL26flash_attn_combine_resultsILi512EEvPKfPK15HIP_vector_typeIfLj2EEPfi
; %bb.0:
	s_load_dwordx2 s[12:13], s[4:5], 0x20
	s_load_dword s9, s[4:5], 0x18
	s_load_dwordx4 s[0:3], s[4:5], 0x0
	s_load_dwordx2 s[10:11], s[4:5], 0x10
	v_lshlrev_b32_e32 v4, 2, v0
	s_waitcnt lgkmcnt(0)
	s_mul_i32 s4, s12, s8
	s_add_i32 s4, s4, s6
	s_mul_i32 s8, s4, s13
	s_add_i32 s8, s8, s7
	s_lshl_b32 s12, s9, 1
	s_mul_i32 s4, s8, s9
	v_cmp_gt_i32_e32 vcc, s12, v0
	s_and_saveexec_b64 s[6:7], vcc
	s_cbranch_execz .LBB4_3
; %bb.1:
	s_ashr_i32 s5, s4, 31
	s_lshl_b64 s[14:15], s[4:5], 3
	s_add_u32 s2, s2, s14
	s_addc_u32 s3, s3, s15
	v_mov_b32_e32 v2, s3
	v_add_co_u32_e32 v1, vcc, s2, v4
	v_addc_co_u32_e32 v2, vcc, 0, v2, vcc
	v_add_u32_e32 v3, 0, v4
	s_mov_b64 s[2:3], 0
	v_mov_b32_e32 v5, v0
.LBB4_2:                                ; =>This Inner Loop Header: Depth=1
	global_load_dword v6, v[1:2], off
	v_add_co_u32_e32 v1, vcc, 0x800, v1
	v_add_u32_e32 v5, 0x200, v5
	v_addc_co_u32_e32 v2, vcc, 0, v2, vcc
	v_cmp_le_i32_e32 vcc, s12, v5
	s_or_b64 s[2:3], vcc, s[2:3]
	s_waitcnt vmcnt(0)
	ds_write_b32 v3, v6
	v_add_u32_e32 v3, 0x800, v3
	s_andn2_b64 exec, exec, s[2:3]
	s_cbranch_execnz .LBB4_2
.LBB4_3:
	s_or_b64 exec, exec, s[6:7]
	v_mov_b32_e32 v1, 0
	s_waitcnt lgkmcnt(0)
	s_barrier
	ds_read_b32 v5, v1
	s_cmp_lt_i32 s9, 2
	s_cbranch_scc1 .LBB4_11
; %bb.4:
	s_add_i32 s2, s9, -1
	s_add_i32 s3, s9, -2
	s_cmp_lt_u32 s3, 7
	s_cbranch_scc1 .LBB4_8
; %bb.5:
	s_mov_b32 s6, 0
	s_add_i32 s3, 0, 8
	s_and_b32 s5, s2, -8
.LBB4_6:                                ; =>This Inner Loop Header: Depth=1
	v_mov_b32_e32 v3, s3
	ds_read2_b32 v[1:2], v3 offset1:2
	ds_read2_b32 v[6:7], v3 offset0:4 offset1:6
	ds_read2_b32 v[8:9], v3 offset0:8 offset1:10
	;; [unrolled: 1-line block ×3, first 2 shown]
	s_mov_b32 s7, s6
	s_waitcnt lgkmcnt(3)
	v_max3_f32 v1, v5, v1, v2
	s_waitcnt lgkmcnt(2)
	v_max3_f32 v1, v1, v6, v7
	s_add_i32 s3, s3, 64
	s_add_i32 s6, s6, 8
	s_waitcnt lgkmcnt(1)
	v_max3_f32 v1, v1, v8, v9
	s_cmp_eq_u32 s5, s6
	s_waitcnt lgkmcnt(0)
	v_max3_f32 v5, v1, v10, v11
	s_cbranch_scc0 .LBB4_6
; %bb.7:
	s_add_i32 s3, s7, 9
	s_and_b32 s2, s2, 7
	s_cmp_eq_u32 s2, 0
	s_cbranch_scc0 .LBB4_9
	s_branch .LBB4_11
.LBB4_8:
	s_mov_b32 s3, 1
	s_and_b32 s2, s2, 7
	s_cmp_eq_u32 s2, 0
	s_cbranch_scc1 .LBB4_11
.LBB4_9:
	s_lshl_b32 s3, s3, 3
	s_add_i32 s3, s3, 0
.LBB4_10:                               ; =>This Inner Loop Header: Depth=1
	v_mov_b32_e32 v1, s3
	ds_read_b32 v1, v1
	s_waitcnt lgkmcnt(1)
	v_max_f32_e32 v2, v5, v5
	s_add_i32 s3, s3, 8
	s_add_i32 s2, s2, -1
	s_cmp_lg_u32 s2, 0
	s_waitcnt lgkmcnt(0)
	v_max_f32_e32 v1, v1, v1
	v_max_f32_e32 v5, v2, v1
	s_cbranch_scc1 .LBB4_10
.LBB4_11:
	s_cmp_lt_i32 s9, 1
	s_cbranch_scc1 .LBB4_16
; %bb.12:
	s_lshl_b32 s2, s4, 9
	s_ashr_i32 s3, s2, 31
	s_lshl_b64 s[2:3], s[2:3], 2
	s_add_u32 s0, s0, s2
	s_addc_u32 s1, s1, s3
	s_cmp_lt_u32 s9, 8
	s_cbranch_scc1 .LBB4_17
; %bb.13:
	s_and_b32 s2, s9, 0x7ffffff8
	v_or_b32_e32 v1, 0xe00, v0
	s_mov_b32 s3, 0
	v_mov_b32_e32 v3, 0
	v_mov_b32_e32 v6, 0
	s_mov_b32 s4, 0x3fb8aa3b
	s_mov_b32 s5, 0xc2ce8ed0
	;; [unrolled: 1-line block ×3, first 2 shown]
	v_mov_b32_e32 v8, 0x7f800000
	v_mov_b32_e32 v9, s1
	s_mov_b32 s7, 0
	v_mov_b32_e32 v7, 0
.LBB4_14:                               ; =>This Inner Loop Header: Depth=1
	v_mov_b32_e32 v10, s3
	ds_read2_b64 v[11:14], v10 offset1:1
	s_add_i32 s7, s7, 8
	s_add_i32 s3, s3, 64
	s_cmp_eq_u32 s2, s7
	s_waitcnt lgkmcnt(0)
	v_sub_f32_e32 v2, v11, v5
	v_mul_f32_e32 v11, 0x3fb8aa3b, v2
	v_fma_f32 v15, v2, s4, -v11
	v_rndne_f32_e32 v16, v11
	v_fmac_f32_e32 v15, 0x32a5705f, v2
	v_sub_f32_e32 v11, v11, v16
	v_add_f32_e32 v11, v11, v15
	v_exp_f32_e32 v11, v11
	v_cvt_i32_f32_e32 v15, v16
	v_cmp_ngt_f32_e32 vcc, s5, v2
	v_ldexp_f32 v11, v11, v15
	v_cndmask_b32_e32 v11, 0, v11, vcc
	v_cmp_nlt_f32_e32 vcc, s6, v2
	v_add_u32_e32 v2, 0xfffff200, v1
	v_lshlrev_b64 v[15:16], 2, v[2:3]
	v_cndmask_b32_e32 v11, v8, v11, vcc
	v_add_co_u32_e32 v15, vcc, s0, v15
	v_addc_co_u32_e32 v16, vcc, v9, v16, vcc
	global_load_dword v2, v[15:16], off
	v_fmac_f32_e32 v7, v11, v12
	s_waitcnt vmcnt(0)
	v_fmac_f32_e32 v6, v2, v11
	v_sub_f32_e32 v2, v13, v5
	v_mul_f32_e32 v11, 0x3fb8aa3b, v2
	v_fma_f32 v12, v2, s4, -v11
	v_rndne_f32_e32 v13, v11
	v_fmac_f32_e32 v12, 0x32a5705f, v2
	v_sub_f32_e32 v11, v11, v13
	v_add_f32_e32 v11, v11, v12
	v_exp_f32_e32 v11, v11
	v_cvt_i32_f32_e32 v12, v13
	v_cmp_ngt_f32_e32 vcc, s5, v2
	v_ldexp_f32 v11, v11, v12
	v_cndmask_b32_e32 v11, 0, v11, vcc
	v_cmp_nlt_f32_e32 vcc, s6, v2
	v_add_u32_e32 v2, 0xfffff400, v1
	v_cndmask_b32_e32 v13, v8, v11, vcc
	v_lshlrev_b64 v[11:12], 2, v[2:3]
	v_fmac_f32_e32 v7, v13, v14
	v_add_co_u32_e32 v11, vcc, s0, v11
	v_addc_co_u32_e32 v12, vcc, v9, v12, vcc
	global_load_dword v2, v[11:12], off
	s_waitcnt vmcnt(0)
	v_fmac_f32_e32 v6, v2, v13
	ds_read2_b64 v[11:14], v10 offset0:2 offset1:3
	s_waitcnt lgkmcnt(0)
	v_sub_f32_e32 v2, v11, v5
	v_mul_f32_e32 v11, 0x3fb8aa3b, v2
	v_fma_f32 v15, v2, s4, -v11
	v_rndne_f32_e32 v16, v11
	v_fmac_f32_e32 v15, 0x32a5705f, v2
	v_sub_f32_e32 v11, v11, v16
	v_add_f32_e32 v11, v11, v15
	v_exp_f32_e32 v11, v11
	v_cvt_i32_f32_e32 v15, v16
	v_cmp_ngt_f32_e32 vcc, s5, v2
	v_ldexp_f32 v11, v11, v15
	v_cndmask_b32_e32 v11, 0, v11, vcc
	v_cmp_nlt_f32_e32 vcc, s6, v2
	v_add_u32_e32 v2, 0xfffff600, v1
	v_lshlrev_b64 v[15:16], 2, v[2:3]
	v_cndmask_b32_e32 v11, v8, v11, vcc
	v_add_co_u32_e32 v15, vcc, s0, v15
	v_addc_co_u32_e32 v16, vcc, v9, v16, vcc
	global_load_dword v2, v[15:16], off
	v_fmac_f32_e32 v7, v11, v12
	s_waitcnt vmcnt(0)
	v_fmac_f32_e32 v6, v2, v11
	v_sub_f32_e32 v2, v13, v5
	v_mul_f32_e32 v11, 0x3fb8aa3b, v2
	v_fma_f32 v12, v2, s4, -v11
	v_rndne_f32_e32 v13, v11
	v_fmac_f32_e32 v12, 0x32a5705f, v2
	v_sub_f32_e32 v11, v11, v13
	v_add_f32_e32 v11, v11, v12
	v_exp_f32_e32 v11, v11
	v_cvt_i32_f32_e32 v12, v13
	v_cmp_ngt_f32_e32 vcc, s5, v2
	v_ldexp_f32 v11, v11, v12
	v_cndmask_b32_e32 v11, 0, v11, vcc
	v_cmp_nlt_f32_e32 vcc, s6, v2
	v_add_u32_e32 v2, 0xfffff800, v1
	v_cndmask_b32_e32 v13, v8, v11, vcc
	v_lshlrev_b64 v[11:12], 2, v[2:3]
	v_fmac_f32_e32 v7, v13, v14
	v_add_co_u32_e32 v11, vcc, s0, v11
	v_addc_co_u32_e32 v12, vcc, v9, v12, vcc
	global_load_dword v2, v[11:12], off
	s_waitcnt vmcnt(0)
	v_fmac_f32_e32 v6, v2, v13
	ds_read2_b64 v[11:14], v10 offset0:4 offset1:5
	;; [unrolled: 46-line block ×3, first 2 shown]
	s_waitcnt lgkmcnt(0)
	v_sub_f32_e32 v2, v10, v5
	v_mul_f32_e32 v10, 0x3fb8aa3b, v2
	v_fma_f32 v14, v2, s4, -v10
	v_rndne_f32_e32 v15, v10
	v_fmac_f32_e32 v14, 0x32a5705f, v2
	v_sub_f32_e32 v10, v10, v15
	v_add_f32_e32 v10, v10, v14
	v_exp_f32_e32 v10, v10
	v_cvt_i32_f32_e32 v14, v15
	v_cmp_ngt_f32_e32 vcc, s5, v2
	v_ldexp_f32 v10, v10, v14
	v_cndmask_b32_e32 v10, 0, v10, vcc
	v_cmp_nlt_f32_e32 vcc, s6, v2
	v_add_u32_e32 v2, 0xfffffe00, v1
	v_lshlrev_b64 v[14:15], 2, v[2:3]
	v_cndmask_b32_e32 v10, v8, v10, vcc
	v_add_co_u32_e32 v14, vcc, s0, v14
	v_addc_co_u32_e32 v15, vcc, v9, v15, vcc
	global_load_dword v2, v[14:15], off
	v_fmac_f32_e32 v7, v10, v11
	s_waitcnt vmcnt(0)
	v_fmac_f32_e32 v6, v2, v10
	v_sub_f32_e32 v2, v12, v5
	v_mul_f32_e32 v10, 0x3fb8aa3b, v2
	v_fma_f32 v11, v2, s4, -v10
	v_rndne_f32_e32 v12, v10
	v_fmac_f32_e32 v11, 0x32a5705f, v2
	v_sub_f32_e32 v10, v10, v12
	v_add_f32_e32 v10, v10, v11
	v_exp_f32_e32 v10, v10
	v_cvt_i32_f32_e32 v11, v12
	v_cmp_ngt_f32_e32 vcc, s5, v2
	v_ldexp_f32 v10, v10, v11
	v_cndmask_b32_e32 v10, 0, v10, vcc
	v_cmp_nlt_f32_e32 vcc, s6, v2
	v_mov_b32_e32 v2, v3
	v_cndmask_b32_e32 v12, v8, v10, vcc
	v_lshlrev_b64 v[10:11], 2, v[1:2]
	v_fmac_f32_e32 v7, v12, v13
	v_add_co_u32_e32 v10, vcc, s0, v10
	v_addc_co_u32_e32 v11, vcc, v9, v11, vcc
	global_load_dword v2, v[10:11], off
	v_add_u32_e32 v1, 0x1000, v1
	s_waitcnt vmcnt(0)
	v_fmac_f32_e32 v6, v2, v12
	s_cbranch_scc0 .LBB4_14
; %bb.15:
	s_and_b32 s3, s9, 7
	s_cmp_eq_u32 s3, 0
	s_cbranch_scc0 .LBB4_18
	s_branch .LBB4_20
.LBB4_16:
	v_mov_b32_e32 v0, 0x7fc00000
	s_branch .LBB4_21
.LBB4_17:
	s_mov_b32 s2, 0
	v_mov_b32_e32 v6, 0
	v_mov_b32_e32 v7, 0
	s_and_b32 s3, s9, 7
	s_cmp_eq_u32 s3, 0
	s_cbranch_scc1 .LBB4_20
.LBB4_18:
	v_lshl_or_b32 v0, s2, 9, v0
	s_lshl_b32 s2, s2, 3
	s_add_i32 s2, s2, 0
	s_mov_b32 s4, 0x3fb8aa3b
	s_mov_b32 s5, 0xc2ce8ed0
	;; [unrolled: 1-line block ×3, first 2 shown]
	v_mov_b32_e32 v2, 0x7f800000
	v_mov_b32_e32 v1, 0
	;; [unrolled: 1-line block ×3, first 2 shown]
.LBB4_19:                               ; =>This Inner Loop Header: Depth=1
	v_lshlrev_b64 v[8:9], 2, v[0:1]
	s_add_i32 s3, s3, -1
	v_add_co_u32_e32 v8, vcc, s0, v8
	v_addc_co_u32_e32 v9, vcc, v3, v9, vcc
	global_load_dword v10, v[8:9], off
	v_mov_b32_e32 v8, s2
	ds_read_b64 v[8:9], v8
	s_add_i32 s2, s2, 8
	v_add_u32_e32 v0, 0x200, v0
	s_cmp_lg_u32 s3, 0
	s_waitcnt lgkmcnt(0)
	v_sub_f32_e32 v8, v8, v5
	v_mul_f32_e32 v11, 0x3fb8aa3b, v8
	v_fma_f32 v12, v8, s4, -v11
	v_rndne_f32_e32 v13, v11
	v_fmac_f32_e32 v12, 0x32a5705f, v8
	v_sub_f32_e32 v11, v11, v13
	v_add_f32_e32 v11, v11, v12
	v_cvt_i32_f32_e32 v13, v13
	v_exp_f32_e32 v11, v11
	v_cmp_ngt_f32_e32 vcc, s5, v8
	v_ldexp_f32 v11, v11, v13
	v_cndmask_b32_e32 v11, 0, v11, vcc
	v_cmp_nlt_f32_e32 vcc, s6, v8
	v_cndmask_b32_e32 v8, v2, v11, vcc
	v_fmac_f32_e32 v7, v8, v9
	s_waitcnt vmcnt(0)
	v_fmac_f32_e32 v6, v10, v8
	s_cbranch_scc1 .LBB4_19
.LBB4_20:
	v_div_scale_f32 v0, s[0:1], v7, v7, v6
	v_div_scale_f32 v1, vcc, v6, v7, v6
	v_rcp_f32_e32 v2, v0
	v_fma_f32 v3, -v0, v2, 1.0
	v_fmac_f32_e32 v2, v3, v2
	v_mul_f32_e32 v3, v1, v2
	s_waitcnt lgkmcnt(0)
	v_fma_f32 v5, -v0, v3, v1
	v_fmac_f32_e32 v3, v5, v2
	v_fma_f32 v0, -v0, v3, v1
	v_div_fmas_f32 v0, v0, v2, v3
	v_div_fixup_f32 v0, v0, v7, v6
.LBB4_21:
	s_lshl_b32 s0, s8, 9
	s_ashr_i32 s1, s0, 31
	s_lshl_b64 s[0:1], s[0:1], 2
	s_add_u32 s0, s10, s0
	s_addc_u32 s1, s11, s1
	global_store_dword v4, v0, s[0:1]
	s_endpgm
	.section	.rodata,"a",@progbits
	.p2align	6, 0x0
	.amdhsa_kernel _ZL26flash_attn_combine_resultsILi512EEvPKfPK15HIP_vector_typeIfLj2EEPfi
		.amdhsa_group_segment_fixed_size 0
		.amdhsa_private_segment_fixed_size 0
		.amdhsa_kernarg_size 288
		.amdhsa_user_sgpr_count 6
		.amdhsa_user_sgpr_private_segment_buffer 1
		.amdhsa_user_sgpr_dispatch_ptr 0
		.amdhsa_user_sgpr_queue_ptr 0
		.amdhsa_user_sgpr_kernarg_segment_ptr 1
		.amdhsa_user_sgpr_dispatch_id 0
		.amdhsa_user_sgpr_flat_scratch_init 0
		.amdhsa_user_sgpr_private_segment_size 0
		.amdhsa_uses_dynamic_stack 0
		.amdhsa_system_sgpr_private_segment_wavefront_offset 0
		.amdhsa_system_sgpr_workgroup_id_x 1
		.amdhsa_system_sgpr_workgroup_id_y 1
		.amdhsa_system_sgpr_workgroup_id_z 1
		.amdhsa_system_sgpr_workgroup_info 0
		.amdhsa_system_vgpr_workitem_id 0
		.amdhsa_next_free_vgpr 17
		.amdhsa_next_free_sgpr 16
		.amdhsa_reserve_vcc 1
		.amdhsa_reserve_flat_scratch 0
		.amdhsa_float_round_mode_32 0
		.amdhsa_float_round_mode_16_64 0
		.amdhsa_float_denorm_mode_32 3
		.amdhsa_float_denorm_mode_16_64 3
		.amdhsa_dx10_clamp 1
		.amdhsa_ieee_mode 1
		.amdhsa_fp16_overflow 0
		.amdhsa_exception_fp_ieee_invalid_op 0
		.amdhsa_exception_fp_denorm_src 0
		.amdhsa_exception_fp_ieee_div_zero 0
		.amdhsa_exception_fp_ieee_overflow 0
		.amdhsa_exception_fp_ieee_underflow 0
		.amdhsa_exception_fp_ieee_inexact 0
		.amdhsa_exception_int_div_zero 0
	.end_amdhsa_kernel
	.section	.text._ZL26flash_attn_combine_resultsILi512EEvPKfPK15HIP_vector_typeIfLj2EEPfi,"axG",@progbits,_ZL26flash_attn_combine_resultsILi512EEvPKfPK15HIP_vector_typeIfLj2EEPfi,comdat
.Lfunc_end4:
	.size	_ZL26flash_attn_combine_resultsILi512EEvPKfPK15HIP_vector_typeIfLj2EEPfi, .Lfunc_end4-_ZL26flash_attn_combine_resultsILi512EEvPKfPK15HIP_vector_typeIfLj2EEPfi
                                        ; -- End function
	.set _ZL26flash_attn_combine_resultsILi512EEvPKfPK15HIP_vector_typeIfLj2EEPfi.num_vgpr, 17
	.set _ZL26flash_attn_combine_resultsILi512EEvPKfPK15HIP_vector_typeIfLj2EEPfi.num_agpr, 0
	.set _ZL26flash_attn_combine_resultsILi512EEvPKfPK15HIP_vector_typeIfLj2EEPfi.numbered_sgpr, 16
	.set _ZL26flash_attn_combine_resultsILi512EEvPKfPK15HIP_vector_typeIfLj2EEPfi.num_named_barrier, 0
	.set _ZL26flash_attn_combine_resultsILi512EEvPKfPK15HIP_vector_typeIfLj2EEPfi.private_seg_size, 0
	.set _ZL26flash_attn_combine_resultsILi512EEvPKfPK15HIP_vector_typeIfLj2EEPfi.uses_vcc, 1
	.set _ZL26flash_attn_combine_resultsILi512EEvPKfPK15HIP_vector_typeIfLj2EEPfi.uses_flat_scratch, 0
	.set _ZL26flash_attn_combine_resultsILi512EEvPKfPK15HIP_vector_typeIfLj2EEPfi.has_dyn_sized_stack, 0
	.set _ZL26flash_attn_combine_resultsILi512EEvPKfPK15HIP_vector_typeIfLj2EEPfi.has_recursion, 0
	.set _ZL26flash_attn_combine_resultsILi512EEvPKfPK15HIP_vector_typeIfLj2EEPfi.has_indirect_call, 0
	.section	.AMDGPU.csdata,"",@progbits
; Kernel info:
; codeLenInByte = 1908
; TotalNumSgprs: 20
; NumVgprs: 17
; ScratchSize: 0
; MemoryBound: 0
; FloatMode: 240
; IeeeMode: 1
; LDSByteSize: 0 bytes/workgroup (compile time only)
; SGPRBlocks: 2
; VGPRBlocks: 4
; NumSGPRsForWavesPerEU: 20
; NumVGPRsForWavesPerEU: 17
; Occupancy: 10
; WaveLimiterHint : 0
; COMPUTE_PGM_RSRC2:SCRATCH_EN: 0
; COMPUTE_PGM_RSRC2:USER_SGPR: 6
; COMPUTE_PGM_RSRC2:TRAP_HANDLER: 0
; COMPUTE_PGM_RSRC2:TGID_X_EN: 1
; COMPUTE_PGM_RSRC2:TGID_Y_EN: 1
; COMPUTE_PGM_RSRC2:TGID_Z_EN: 1
; COMPUTE_PGM_RSRC2:TIDIG_COMP_CNT: 0
	.section	.text._ZL15flash_attn_tileILi576ELi512ELi1ELi16ELb0EEvPKcS1_S1_S1_S1_PKiPfP15HIP_vector_typeIfLj2EEffffjfiS5_IjLj3EEiiiiiiiiiiiliiliiiiil,"axG",@progbits,_ZL15flash_attn_tileILi576ELi512ELi1ELi16ELb0EEvPKcS1_S1_S1_S1_PKiPfP15HIP_vector_typeIfLj2EEffffjfiS5_IjLj3EEiiiiiiiiiiiliiliiiiil,comdat
	.globl	_ZL15flash_attn_tileILi576ELi512ELi1ELi16ELb0EEvPKcS1_S1_S1_S1_PKiPfP15HIP_vector_typeIfLj2EEffffjfiS5_IjLj3EEiiiiiiiiiiiliiliiiiil ; -- Begin function _ZL15flash_attn_tileILi576ELi512ELi1ELi16ELb0EEvPKcS1_S1_S1_S1_PKiPfP15HIP_vector_typeIfLj2EEffffjfiS5_IjLj3EEiiiiiiiiiiiliiliiiiil
	.p2align	8
	.type	_ZL15flash_attn_tileILi576ELi512ELi1ELi16ELb0EEvPKcS1_S1_S1_S1_PKiPfP15HIP_vector_typeIfLj2EEffffjfiS5_IjLj3EEiiiiiiiiiiiliiliiiiil,@function
_ZL15flash_attn_tileILi576ELi512ELi1ELi16ELb0EEvPKcS1_S1_S1_S1_PKiPfP15HIP_vector_typeIfLj2EEffffjfiS5_IjLj3EEiiiiiiiiiiiliiliiiiil: ; @_ZL15flash_attn_tileILi576ELi512ELi1ELi16ELb0EEvPKcS1_S1_S1_S1_PKiPfP15HIP_vector_typeIfLj2EEffffjfiS5_IjLj3EEiiiiiiiiiiiliiliiiiil
; %bb.0:
	s_load_dwordx4 s[0:3], s[4:5], 0x5c
	s_load_dwordx2 s[24:25], s[4:5], 0x80
	s_load_dwordx2 s[28:29], s[4:5], 0xb8
	s_mov_b64 s[26:27], 0
	s_waitcnt lgkmcnt(0)
	s_ashr_i32 s9, s3, 31
	s_lshr_b32 s9, s9, 28
	s_add_i32 s9, s3, s9
	s_ashr_i32 s9, s9, 4
	v_cvt_f32_u32_e32 v2, s9
	s_sub_i32 s10, 0, s9
	v_rcp_iflag_f32_e32 v2, v2
	v_mul_f32_e32 v2, 0x4f7ffffe, v2
	v_cvt_u32_f32_e32 v2, v2
	v_readfirstlane_b32 s11, v2
	s_mul_i32 s10, s10, s11
	s_mul_hi_u32 s10, s11, s10
	s_add_i32 s11, s11, s10
	s_mul_hi_u32 s10, s8, s11
	s_mul_i32 s11, s10, s9
	s_sub_i32 s11, s8, s11
	s_add_i32 s12, s10, 1
	s_sub_i32 s13, s11, s9
	s_cmp_ge_u32 s11, s9
	s_cselect_b32 s10, s12, s10
	s_cselect_b32 s11, s13, s11
	s_add_i32 s12, s10, 1
	s_cmp_ge_u32 s11, s9
	s_cselect_b32 s30, s12, s10
	s_abs_i32 s9, s25
	v_cvt_f32_u32_e32 v2, s9
	s_lshl_b32 s8, s8, 4
	s_mul_i32 s12, s30, s3
	s_xor_b32 s10, s3, s25
	v_rcp_iflag_f32_e32 v2, v2
	s_sub_i32 s13, 0, s9
	s_sub_i32 s25, s8, s12
	s_abs_i32 s11, s3
	v_mul_f32_e32 v2, 0x4f7ffffe, v2
	v_cvt_u32_f32_e32 v2, v2
	s_ashr_i32 s10, s10, 31
	v_readfirstlane_b32 s8, v2
	s_mul_i32 s13, s13, s8
	s_mul_hi_u32 s12, s8, s13
	s_add_i32 s8, s8, s12
	s_mul_hi_u32 s8, s11, s8
	s_mul_i32 s12, s8, s9
	s_sub_i32 s11, s11, s12
	s_add_i32 s13, s8, 1
	s_sub_i32 s12, s11, s9
	s_cmp_ge_u32 s11, s9
	s_cselect_b32 s8, s13, s8
	s_cselect_b32 s11, s12, s11
	s_add_i32 s12, s8, 1
	s_cmp_ge_u32 s11, s9
	s_cselect_b32 s8, s12, s8
	s_xor_b32 s8, s8, s10
	s_sub_i32 s33, s8, s10
	s_abs_i32 s31, s33
	v_cvt_f32_u32_e32 v2, s31
	s_load_dwordx16 s[8:23], s[4:5], 0x0
	v_rcp_iflag_f32_e32 v2, v2
	s_waitcnt lgkmcnt(0)
	s_cmp_eq_u64 s[14:15], 0
	v_mul_f32_e32 v2, 0x4f7ffffe, v2
	v_cvt_u32_f32_e32 v2, v2
	v_readfirstlane_b32 s34, v2
	s_cbranch_scc1 .LBB5_2
; %bb.1:
	s_abs_i32 s28, s28
	v_cvt_f32_u32_e32 v2, s28
	s_sub_i32 s37, 0, s28
	s_abs_i32 s36, s30
	s_ashr_i32 s35, s30, 31
	v_rcp_iflag_f32_e32 v2, v2
	s_load_dwordx2 s[26:27], s[4:5], 0xc8
	v_mul_f32_e32 v2, 0x4f7ffffe, v2
	v_cvt_u32_f32_e32 v2, v2
	v_readfirstlane_b32 s38, v2
	s_mul_i32 s37, s37, s38
	s_mul_hi_u32 s37, s38, s37
	s_add_i32 s38, s38, s37
	s_mul_hi_u32 s37, s36, s38
	s_mul_i32 s37, s37, s28
	s_sub_i32 s36, s36, s37
	s_sub_i32 s37, s36, s28
	s_cmp_ge_u32 s36, s28
	s_cselect_b32 s36, s37, s36
	s_sub_i32 s37, s36, s28
	s_cmp_ge_u32 s36, s28
	s_cselect_b32 s28, s37, s36
	s_xor_b32 s28, s28, s35
	s_sub_i32 s28, s28, s35
	s_ashr_i32 s35, s28, 31
	s_waitcnt lgkmcnt(0)
	s_mul_hi_u32 s36, s26, s28
	s_mul_i32 s35, s26, s35
	s_mul_i32 s27, s27, s28
	s_add_i32 s35, s36, s35
	s_add_i32 s35, s35, s27
	s_mul_i32 s26, s26, s28
	s_add_u32 s26, s14, s26
	s_addc_u32 s27, s15, s35
.LBB5_2:
	v_lshrrev_b32_e32 v2, 3, v1
	s_load_dwordx4 s[36:39], s[4:5], 0x70
	v_add_u32_e32 v12, s6, v2
	v_mul_hi_u32 v2, s0, v12
	v_lshlrev_b32_e32 v5, 1, v1
	v_and_b32_e32 v14, 14, v5
	s_waitcnt lgkmcnt(0)
	s_mul_i32 s0, s30, s38
	v_add_u32_e32 v2, v12, v2
	s_ashr_i32 s15, s0, 31
	v_lshrrev_b32_e32 v2, s1, v2
	s_mul_i32 s14, s25, s37
	s_add_u32 s0, s8, s0
	v_mul_lo_u32 v2, v2, s2
	s_addc_u32 s8, s9, s15
	s_ashr_i32 s9, s14, 31
	s_add_u32 s28, s0, s14
	s_addc_u32 s14, s8, s9
	s_ashr_i32 s9, s37, 31
	s_mov_b32 s8, s37
	s_ashr_i32 s37, s36, 31
	v_sub_u32_e32 v4, v12, v2
	s_lshr_b64 s[0:1], s[36:37], 2
	v_mad_u64_u32 v[2:3], s[0:1], s0, v4, 0
	s_lshr_b32 s0, s37, 2
	v_mul_u32_u24_e32 v15, 0x900, v1
	v_mad_u64_u32 v[6:7], s[0:1], s0, v4, v[3:4]
	s_lshr_b64 s[0:1], s[8:9], 2
	s_lshr_b32 s8, s9, 2
	v_mov_b32_e32 v3, v6
	v_mov_b32_e32 v6, s14
	v_mad_u64_u32 v[9:10], s[14:15], s0, v14, 0
	v_lshlrev_b64 v[2:3], 2, v[2:3]
	s_load_dword s14, s[4:5], 0x40
	v_add_co_u32_e32 v7, vcc, s28, v2
	v_mov_b32_e32 v2, v10
	v_addc_co_u32_e32 v8, vcc, v6, v3, vcc
	v_mad_u64_u32 v[2:3], s[8:9], s8, v14, v[2:3]
	v_lshlrev_b32_e32 v6, 4, v0
	v_add_co_u32_e32 v6, vcc, v7, v6
	v_mov_b32_e32 v10, v2
	v_lshlrev_b64 v[2:3], 2, v[9:10]
	v_addc_co_u32_e32 v8, vcc, 0, v8, vcc
	v_add_co_u32_e32 v2, vcc, v6, v2
	v_addc_co_u32_e32 v3, vcc, v8, v3, vcc
	global_load_dwordx4 v[16:19], v[2:3], off
	global_load_dwordx4 v[20:23], v[2:3], off offset:512
	global_load_dwordx4 v[24:27], v[2:3], off offset:1024
	;; [unrolled: 1-line block ×3, first 2 shown]
	v_lshlrev_b32_e32 v7, 3, v0
	s_movk_i32 s8, 0x900
	v_mad_u32_u24 v11, v1, s8, v7
	v_cmp_gt_u32_e32 vcc, 16, v0
	s_waitcnt vmcnt(3) lgkmcnt(0)
	v_fma_mixlo_f16 v9, s14, v16, 0
	v_fma_mixlo_f16 v10, s14, v17, 0
	;; [unrolled: 1-line block ×4, first 2 shown]
	s_waitcnt vmcnt(2)
	v_fma_mixlo_f16 v17, s14, v20, 0
	v_fma_mixlo_f16 v18, s14, v21, 0
	;; [unrolled: 1-line block ×4, first 2 shown]
	s_waitcnt vmcnt(1)
	v_fma_mixlo_f16 v21, s14, v24, 0
	v_fma_mixlo_f16 v22, s14, v25, 0
	;; [unrolled: 1-line block ×3, first 2 shown]
	s_waitcnt vmcnt(0)
	v_fma_mixlo_f16 v25, s14, v28, 0
	v_fma_mixlo_f16 v26, s14, v29, 0
	v_lshlrev_b32_e32 v10, 16, v10
	v_and_b32_e32 v9, 0xffff, v9
	v_lshlrev_b32_e32 v16, 16, v16
	v_and_b32_e32 v13, 0xffff, v13
	;; [unrolled: 2-line block ×3, first 2 shown]
	v_fma_mixlo_f16 v24, s14, v27, 0
	v_fma_mixlo_f16 v27, s14, v30, 0
	;; [unrolled: 1-line block ×3, first 2 shown]
	v_lshlrev_b32_e32 v20, 16, v20
	v_and_b32_e32 v19, 0xffff, v19
	v_lshlrev_b32_e32 v22, 16, v22
	v_and_b32_e32 v21, 0xffff, v21
	;; [unrolled: 2-line block ×3, first 2 shown]
	v_or_b32_e32 v9, v10, v9
	v_or3_b32 v10, v16, v13, 0
	v_or_b32_e32 v13, v18, v17
	v_lshlrev_b32_e32 v24, 16, v24
	v_and_b32_e32 v23, 0xffff, v23
	v_lshlrev_b32_e32 v28, 16, v28
	v_and_b32_e32 v27, 0xffff, v27
	v_or3_b32 v17, v20, v19, 0
	v_or_b32_e32 v18, v22, v21
	v_or_b32_e32 v20, v26, v25
	v_or3_b32 v9, 0, 0, v9
	v_or3_b32 v16, 0, 0, v13
	;; [unrolled: 1-line block ×6, first 2 shown]
	ds_write2_b64 v11, v[9:10], v[16:17] offset1:32
	ds_write2_b64 v11, v[18:19], v[20:21] offset0:64 offset1:96
	s_and_saveexec_b64 s[8:9], vcc
	s_cbranch_execz .LBB5_4
; %bb.3:
	global_load_dwordx4 v[16:19], v[2:3], off offset:2048
	s_waitcnt vmcnt(0)
	v_fma_mixlo_f16 v2, s14, v16, 0
	v_fma_mixlo_f16 v3, s14, v17, 0
	;; [unrolled: 1-line block ×4, first 2 shown]
	v_lshlrev_b32_e32 v3, 16, v3
	v_and_b32_e32 v2, 0xffff, v2
	v_lshlrev_b32_e32 v10, 16, v10
	v_and_b32_e32 v9, 0xffff, v9
	v_or_b32_e32 v2, v3, v2
	v_or3_b32 v3, v10, v9, 0
	v_or3_b32 v2, 0, 0, v2
	v_add_u32_e32 v9, v7, v15
	ds_write_b64 v9, v[2:3] offset:1024
.LBB5_4:
	s_or_b64 exec, exec, s[8:9]
	v_or_b32_e32 v5, 1, v5
	v_and_b32_e32 v9, 15, v5
	v_mad_u64_u32 v[2:3], s[8:9], s0, v9, 0
	v_mad_u64_u32 v[9:10], s[0:1], s1, v9, v[3:4]
	v_mov_b32_e32 v3, v9
	v_lshlrev_b64 v[2:3], 2, v[2:3]
	v_add_co_u32_e64 v2, s[0:1], v6, v2
	v_addc_co_u32_e64 v3, s[0:1], v8, v3, s[0:1]
	global_load_dwordx4 v[8:11], v[2:3], off
	global_load_dwordx4 v[16:19], v[2:3], off offset:512
	global_load_dwordx4 v[20:23], v[2:3], off offset:1024
	global_load_dwordx4 v[24:27], v[2:3], off offset:1536
	s_movk_i32 s0, 0x480
	v_mad_u32_u24 v6, v5, s0, v7
	s_waitcnt vmcnt(3)
	v_fma_mixlo_f16 v8, s14, v8, 0
	v_fma_mixlo_f16 v9, s14, v9, 0
	v_fma_mixlo_f16 v10, s14, v10, 0
	v_fma_mixlo_f16 v11, s14, v11, 0
	s_waitcnt vmcnt(2)
	v_fma_mixlo_f16 v13, s14, v16, 0
	v_fma_mixlo_f16 v16, s14, v17, 0
	v_fma_mixlo_f16 v17, s14, v18, 0
	v_fma_mixlo_f16 v18, s14, v19, 0
	;; [unrolled: 5-line block ×3, first 2 shown]
	s_waitcnt vmcnt(0)
	v_fma_mixlo_f16 v23, s14, v24, 0
	v_fma_mixlo_f16 v24, s14, v25, 0
	v_lshlrev_b32_e32 v9, 16, v9
	v_and_b32_e32 v8, 0xffff, v8
	v_lshlrev_b32_e32 v11, 16, v11
	v_and_b32_e32 v10, 0xffff, v10
	;; [unrolled: 2-line block ×3, first 2 shown]
	v_fma_mixlo_f16 v25, s14, v26, 0
	v_fma_mixlo_f16 v26, s14, v27, 0
	v_lshlrev_b32_e32 v18, 16, v18
	v_and_b32_e32 v17, 0xffff, v17
	v_lshlrev_b32_e32 v20, 16, v20
	v_and_b32_e32 v19, 0xffff, v19
	;; [unrolled: 2-line block ×3, first 2 shown]
	v_or_b32_e32 v8, v9, v8
	v_or3_b32 v9, v11, v10, 0
	v_or_b32_e32 v10, v16, v13
	v_lshlrev_b32_e32 v22, 16, v22
	v_and_b32_e32 v21, 0xffff, v21
	v_lshlrev_b32_e32 v26, 16, v26
	v_and_b32_e32 v25, 0xffff, v25
	v_or3_b32 v11, v18, v17, 0
	v_or_b32_e32 v13, v20, v19
	v_or_b32_e32 v18, v24, v23
	v_or3_b32 v8, 0, 0, v8
	v_or3_b32 v10, 0, 0, v10
	;; [unrolled: 1-line block ×6, first 2 shown]
	ds_write2_b64 v6, v[8:9], v[10:11] offset1:32
	ds_write2_b64 v6, v[16:17], v[18:19] offset0:64 offset1:96
	s_and_saveexec_b64 s[0:1], vcc
	s_cbranch_execz .LBB5_6
; %bb.5:
	global_load_dwordx4 v[8:11], v[2:3], off offset:2048
	v_mul_u32_u24_e32 v5, 0x480, v5
	v_add_u32_e32 v5, v7, v5
	s_waitcnt vmcnt(0)
	v_fma_mixlo_f16 v2, s14, v8, 0
	v_fma_mixlo_f16 v3, s14, v9, 0
	;; [unrolled: 1-line block ×4, first 2 shown]
	v_lshlrev_b32_e32 v3, 16, v3
	v_and_b32_e32 v2, 0xffff, v2
	v_lshlrev_b32_e32 v8, 16, v8
	v_and_b32_e32 v6, 0xffff, v6
	v_or_b32_e32 v2, v3, v2
	v_or3_b32 v3, v8, v6, 0
	v_or3_b32 v2, 0, 0, v2
	ds_write_b64 v5, v[2:3] offset:1024
.LBB5_6:
	s_or_b64 exec, exec, s[0:1]
	s_cmp_eq_u64 s[18:19], 0
	s_waitcnt lgkmcnt(0)
	s_barrier
	s_cbranch_scc1 .LBB5_8
; %bb.7:
	s_load_dword s0, s[4:5], 0xd0
	s_mov_b32 s1, 0
	s_waitcnt lgkmcnt(0)
	s_mul_i32 s0, s0, s30
	s_add_i32 s0, s0, s6
	s_lshl_b64 s[0:1], s[0:1], 2
	s_add_u32 s0, s18, s0
	s_addc_u32 s1, s19, s1
	s_load_dword s24, s[0:1], 0x0
.LBB5_8:
	s_lshl_b32 s6, s7, 6
	v_lshlrev_b32_e32 v13, 2, v0
	s_waitcnt lgkmcnt(0)
	s_cmp_lt_i32 s6, s24
	v_mbcnt_lo_u32_b32 v2, -1, 0
	s_cbranch_scc1 .LBB5_11
; %bb.9:
	v_mbcnt_hi_u32_b32 v16, -1, v2
	v_and_b32_e32 v3, 0x60, v16
	v_add_u32_e32 v17, 32, v3
	v_xor_b32_e32 v22, 16, v16
	v_xor_b32_e32 v21, 8, v16
	;; [unrolled: 1-line block ×5, first 2 shown]
	s_cbranch_execz .LBB5_12
; %bb.10:
	v_mov_b32_e32 v49, 0
	v_mov_b32_e32 v23, 0
	v_mov_b32_e32 v11, 0xfeffffff
	v_mov_b32_e32 v10, 0xfeffffff
	v_mov_b32_e32 v40, 0
	v_mov_b32_e32 v56, 0
	v_mov_b32_e32 v54, 0
	v_mov_b32_e32 v55, 0
	v_mov_b32_e32 v52, 0
	v_mov_b32_e32 v53, 0
	v_mov_b32_e32 v50, 0
	v_mov_b32_e32 v51, 0
	v_mov_b32_e32 v42, 0
	v_mov_b32_e32 v48, 0
	v_mov_b32_e32 v46, 0
	v_mov_b32_e32 v47, 0
	v_mov_b32_e32 v44, 0
	v_mov_b32_e32 v45, 0
	v_mov_b32_e32 v43, 0
	v_mov_b32_e32 v41, 0
	s_branch .LBB5_14
.LBB5_11:
                                        ; implicit-def: $vgpr16
                                        ; implicit-def: $vgpr17
                                        ; implicit-def: $vgpr22
                                        ; implicit-def: $vgpr21
                                        ; implicit-def: $vgpr20
                                        ; implicit-def: $vgpr19
                                        ; implicit-def: $vgpr18
.LBB5_12:
	s_sub_i32 s0, 0, s31
	s_mul_i32 s0, s0, s34
	s_mul_hi_u32 s0, s34, s0
	s_add_i32 s34, s34, s0
	s_load_dwordx2 s[0:1], s[4:5], 0x8c
	s_load_dwordx4 s[36:39], s[4:5], 0x98
	s_abs_i32 s18, s25
	s_mul_hi_u32 s19, s18, s34
	s_ashr_i32 s28, s25, 31
	s_waitcnt lgkmcnt(0)
	s_ashr_i32 s9, s0, 2
	s_ashr_i32 s0, s30, 31
	s_mul_hi_u32 s34, s36, s30
	s_mul_i32 s35, s36, s0
	s_add_i32 s34, s34, s35
	s_mul_i32 s35, s37, s30
	s_ashr_i32 s33, s33, 31
	s_ashr_i32 s8, s38, 2
	;; [unrolled: 1-line block ×3, first 2 shown]
	s_add_i32 s34, s34, s35
	s_mul_i32 s35, s36, s30
	s_add_u32 s10, s10, s35
	s_addc_u32 s11, s11, s34
	s_xor_b32 s28, s28, s33
	s_mul_i32 s33, s19, s31
	s_sub_i32 s18, s18, s33
	s_add_i32 s33, s19, 1
	s_sub_i32 s34, s18, s31
	s_cmp_ge_u32 s18, s31
	s_cselect_b32 s19, s33, s19
	s_cselect_b32 s18, s34, s18
	s_add_i32 s33, s19, 1
	s_cmp_ge_u32 s18, s31
	s_load_dwordx2 s[14:15], s[4:5], 0xa8
	s_cselect_b32 s18, s33, s19
	s_xor_b32 s18, s18, s28
	s_sub_i32 s18, s18, s28
	s_mul_i32 s1, s18, s1
	s_ashr_i32 s19, s1, 31
	s_add_u32 s10, s10, s1
	s_waitcnt lgkmcnt(0)
	s_mul_hi_u32 s1, s14, s30
	s_mul_i32 s0, s14, s0
	s_addc_u32 s11, s11, s19
	s_add_i32 s0, s1, s0
	s_mul_i32 s1, s15, s30
	s_add_i32 s0, s0, s1
	s_mul_i32 s1, s14, s30
	s_add_u32 s1, s12, s1
	s_mul_i32 s18, s18, s39
	s_addc_u32 s0, s13, s0
	s_ashr_i32 s12, s18, 31
	s_add_u32 s13, s1, s18
	v_lshrrev_b32_e32 v3, 3, v0
	v_and_b32_e32 v11, 28, v13
	s_addc_u32 s12, s0, s12
	v_lshl_add_u32 v3, v1, 2, v3
	v_lshlrev_b32_e32 v5, 2, v11
	s_movk_i32 s0, 0x90
	v_mul_lo_u32 v8, s9, v3
	v_mad_u32_u24 v3, v3, s0, v5
	v_add_u32_e32 v24, 0x4800, v3
	v_add_u32_e32 v25, 0x5a00, v3
	v_mov_b32_e32 v3, 0x4800
	v_mad_u32_u24 v26, v0, s0, v3
	v_mov_b32_e32 v3, 0x6c00
	v_lshl_add_u32 v27, v1, 8, v3
	v_mul_lo_u32 v3, s8, v1
	v_mad_u64_u32 v[5:6], s[0:1], v4, s29, v[0:1]
	v_lshl_add_u32 v16, s9, 5, v8
	v_ashrrev_i32_e32 v4, 31, v3
	v_lshlrev_b64 v[3:4], 2, v[3:4]
	v_mov_b32_e32 v10, s12
	v_add_co_u32_e32 v3, vcc, s13, v3
	v_ashrrev_i32_e32 v9, 31, v8
	v_ashrrev_i32_e32 v17, 31, v16
	v_lshlrev_b32_e32 v6, 2, v13
	v_addc_co_u32_e32 v4, vcc, v10, v4, vcc
	v_lshl_add_u32 v1, v1, 10, v6
	v_or_b32_e32 v30, 0x4800, v7
	v_add_co_u32_e32 v31, vcc, v3, v6
	v_lshlrev_b64 v[6:7], 2, v[8:9]
	v_lshlrev_b64 v[8:9], 2, v[16:17]
	v_mbcnt_hi_u32_b32 v16, -1, v2
	v_add_u32_e32 v28, 0x4800, v1
	v_add_u32_e32 v29, 0x4a00, v1
	s_add_u32 s0, s4, 0xd0
	v_and_b32_e32 v1, 0x60, v16
	v_mov_b32_e32 v41, 0
	s_addc_u32 s1, s5, 0
	v_addc_co_u32_e32 v32, vcc, 0, v4, vcc
	v_mov_b32_e32 v10, 0xfeffffff
	v_lshlrev_b32_e32 v33, 2, v11
	v_add_u32_e32 v17, 32, v1
	v_xor_b32_e32 v22, 16, v16
	v_xor_b32_e32 v21, 8, v16
	;; [unrolled: 1-line block ×5, first 2 shown]
	v_mov_b32_e32 v34, s27
	s_mov_b32 s12, 0x3fb8aa3b
	s_mov_b32 s13, 0xc2ce8ed0
	;; [unrolled: 1-line block ×3, first 2 shown]
	v_mov_b32_e32 v35, 0x7f800000
	s_mov_b32 s15, 0x10001
	v_add_u32_e32 v36, v27, v13
	v_add_u32_e32 v37, 0x800, v30
	;; [unrolled: 1-line block ×4, first 2 shown]
	v_mov_b32_e32 v43, 0
	v_mov_b32_e32 v45, 0
	;; [unrolled: 1-line block ×18, first 2 shown]
.LBB5_13:                               ; =>This Inner Loop Header: Depth=1
	s_mul_hi_i32 s19, s6, s9
	s_mul_i32 s18, s6, s9
	s_lshl_b64 s[18:19], s[18:19], 2
	s_add_u32 s18, s10, s18
	s_addc_u32 s19, s11, s19
	v_add_co_u32_e32 v1, vcc, s18, v6
	v_mov_b32_e32 v2, s19
	v_addc_co_u32_e32 v2, vcc, v2, v7, vcc
	v_add_co_u32_e32 v1, vcc, v1, v33
	v_addc_co_u32_e32 v2, vcc, 0, v2, vcc
	global_load_dwordx4 v[59:62], v[1:2], off
	v_add_co_u32_e32 v3, vcc, s18, v8
	v_mov_b32_e32 v4, s19
	v_addc_co_u32_e32 v4, vcc, v4, v9, vcc
	v_add_co_u32_e32 v3, vcc, v3, v33
	v_addc_co_u32_e32 v4, vcc, 0, v4, vcc
	v_mov_b32_e32 v58, v40
	v_mov_b32_e32 v40, v10
	;; [unrolled: 1-line block ×5, first 2 shown]
	v_cmp_lt_i32_e32 vcc, v22, v17
	s_mul_hi_i32 s19, s6, s8
	s_mul_i32 s18, s6, s8
	s_lshl_b64 s[18:19], s[18:19], 2
	s_waitcnt vmcnt(0)
	ds_write_b128 v24, v[59:62]
	global_load_dwordx4 v[59:62], v[3:4], off
	s_waitcnt vmcnt(0)
	ds_write_b128 v25, v[59:62]
	s_waitcnt lgkmcnt(0)
	s_barrier
	ds_read_b128 v[59:62], v26
	ds_read_b128 v[63:66], v26 offset:4608
	ds_read_b128 v[67:70], v15
	ds_read_b128 v[71:74], v15 offset:1152
	s_waitcnt lgkmcnt(1)
	;;#ASMSTART
	v_dot2_f32_f16 v10, v59, v67, v10
	;;#ASMEND
	;;#ASMSTART
	v_dot2_f32_f16 v10, v60, v68, v10
	;;#ASMEND
	;; [unrolled: 3-line block ×4, first 2 shown]
	s_waitcnt lgkmcnt(0)
	;;#ASMSTART
	v_dot2_f32_f16 v11, v59, v71, v11
	;;#ASMEND
	;;#ASMSTART
	v_dot2_f32_f16 v11, v60, v72, v11
	;;#ASMEND
	;; [unrolled: 3-line block ×3, first 2 shown]
	v_mov_b32_e32 v60, 0
	;;#ASMSTART
	v_dot2_f32_f16 v11, v62, v74, v11
	;;#ASMEND
	;;#ASMSTART
	v_dot2_f32_f16 v60, v63, v67, v60
	;;#ASMEND
	;;#ASMSTART
	v_dot2_f32_f16 v60, v64, v68, v60
	;;#ASMEND
	;;#ASMSTART
	v_dot2_f32_f16 v60, v65, v69, v60
	;;#ASMEND
	v_mov_b32_e32 v59, 0
	;;#ASMSTART
	v_dot2_f32_f16 v60, v66, v70, v60
	;;#ASMEND
	;;#ASMSTART
	v_dot2_f32_f16 v59, v63, v71, v59
	;;#ASMEND
	;;#ASMSTART
	v_dot2_f32_f16 v59, v64, v72, v59
	;;#ASMEND
	;;#ASMSTART
	v_dot2_f32_f16 v59, v65, v73, v59
	;;#ASMEND
	;;#ASMSTART
	v_dot2_f32_f16 v59, v66, v74, v59
	;;#ASMEND
	ds_read_b128 v[61:64], v26 offset:16
	ds_read_b128 v[65:68], v26 offset:4624
	ds_read_b128 v[69:72], v15 offset:16
	ds_read_b128 v[73:76], v15 offset:1168
	s_waitcnt lgkmcnt(1)
	;;#ASMSTART
	v_dot2_f32_f16 v10, v61, v69, v10
	;;#ASMEND
	;;#ASMSTART
	v_dot2_f32_f16 v10, v62, v70, v10
	;;#ASMEND
	;;#ASMSTART
	v_dot2_f32_f16 v10, v63, v71, v10
	;;#ASMEND
	;;#ASMSTART
	v_dot2_f32_f16 v10, v64, v72, v10
	;;#ASMEND
	s_waitcnt lgkmcnt(0)
	;;#ASMSTART
	v_dot2_f32_f16 v11, v61, v73, v11
	;;#ASMEND
	;;#ASMSTART
	v_dot2_f32_f16 v11, v62, v74, v11
	;;#ASMEND
	;;#ASMSTART
	v_dot2_f32_f16 v11, v63, v75, v11
	;;#ASMEND
	;;#ASMSTART
	v_dot2_f32_f16 v11, v64, v76, v11
	;;#ASMEND
	;;#ASMSTART
	v_dot2_f32_f16 v60, v65, v69, v60
	;;#ASMEND
	;;#ASMSTART
	v_dot2_f32_f16 v60, v66, v70, v60
	;;#ASMEND
	;;#ASMSTART
	v_dot2_f32_f16 v60, v67, v71, v60
	;;#ASMEND
	;;#ASMSTART
	v_dot2_f32_f16 v60, v68, v72, v60
	;;#ASMEND
	;;#ASMSTART
	v_dot2_f32_f16 v59, v65, v73, v59
	;;#ASMEND
	;;#ASMSTART
	v_dot2_f32_f16 v59, v66, v74, v59
	;;#ASMEND
	;;#ASMSTART
	v_dot2_f32_f16 v59, v67, v75, v59
	;;#ASMEND
	;;#ASMSTART
	v_dot2_f32_f16 v59, v68, v76, v59
	;;#ASMEND
	ds_read_b128 v[61:64], v26 offset:32
	ds_read_b128 v[65:68], v26 offset:4640
	ds_read_b128 v[69:72], v15 offset:32
	ds_read_b128 v[73:76], v15 offset:1184
	s_waitcnt lgkmcnt(1)
	;;#ASMSTART
	v_dot2_f32_f16 v10, v61, v69, v10
	;;#ASMEND
	;;#ASMSTART
	v_dot2_f32_f16 v10, v62, v70, v10
	;;#ASMEND
	;;#ASMSTART
	v_dot2_f32_f16 v10, v63, v71, v10
	;;#ASMEND
	;;#ASMSTART
	v_dot2_f32_f16 v10, v64, v72, v10
	;;#ASMEND
	s_waitcnt lgkmcnt(0)
	;;#ASMSTART
	v_dot2_f32_f16 v11, v61, v73, v11
	;;#ASMEND
	;;#ASMSTART
	v_dot2_f32_f16 v11, v62, v74, v11
	;;#ASMEND
	;;#ASMSTART
	v_dot2_f32_f16 v11, v63, v75, v11
	;;#ASMEND
	;;#ASMSTART
	v_dot2_f32_f16 v11, v64, v76, v11
	;;#ASMEND
	;;#ASMSTART
	v_dot2_f32_f16 v60, v65, v69, v60
	;;#ASMEND
	;;#ASMSTART
	v_dot2_f32_f16 v60, v66, v70, v60
	;;#ASMEND
	;;#ASMSTART
	v_dot2_f32_f16 v60, v67, v71, v60
	;;#ASMEND
	;; [unrolled: 54-line block ×7, first 2 shown]
	;;#ASMSTART
	v_dot2_f32_f16 v60, v68, v72, v60
	;;#ASMEND
	;;#ASMSTART
	v_dot2_f32_f16 v59, v65, v73, v59
	;;#ASMEND
	;; [unrolled: 3-line block ×5, first 2 shown]
	s_barrier
	global_load_dwordx4 v[61:64], v[1:2], off offset:128
	s_waitcnt vmcnt(0)
	ds_write_b128 v24, v[61:64]
	global_load_dwordx4 v[61:64], v[3:4], off offset:128
	s_waitcnt vmcnt(0)
	ds_write_b128 v25, v[61:64]
	s_waitcnt lgkmcnt(0)
	s_barrier
	ds_read_b128 v[61:64], v26
	ds_read_b128 v[65:68], v26 offset:4608
	ds_read_b128 v[69:72], v15 offset:128
	ds_read_b128 v[73:76], v15 offset:1280
	s_waitcnt lgkmcnt(1)
	;;#ASMSTART
	v_dot2_f32_f16 v10, v61, v69, v10
	;;#ASMEND
	;;#ASMSTART
	v_dot2_f32_f16 v10, v62, v70, v10
	;;#ASMEND
	;;#ASMSTART
	v_dot2_f32_f16 v10, v63, v71, v10
	;;#ASMEND
	;;#ASMSTART
	v_dot2_f32_f16 v10, v64, v72, v10
	;;#ASMEND
	s_waitcnt lgkmcnt(0)
	;;#ASMSTART
	v_dot2_f32_f16 v11, v61, v73, v11
	;;#ASMEND
	;;#ASMSTART
	v_dot2_f32_f16 v11, v62, v74, v11
	;;#ASMEND
	;;#ASMSTART
	v_dot2_f32_f16 v11, v63, v75, v11
	;;#ASMEND
	;;#ASMSTART
	v_dot2_f32_f16 v11, v64, v76, v11
	;;#ASMEND
	;;#ASMSTART
	v_dot2_f32_f16 v60, v65, v69, v60
	;;#ASMEND
	;;#ASMSTART
	v_dot2_f32_f16 v60, v66, v70, v60
	;;#ASMEND
	;;#ASMSTART
	v_dot2_f32_f16 v60, v67, v71, v60
	;;#ASMEND
	;;#ASMSTART
	v_dot2_f32_f16 v60, v68, v72, v60
	;;#ASMEND
	;;#ASMSTART
	v_dot2_f32_f16 v59, v65, v73, v59
	;;#ASMEND
	;;#ASMSTART
	v_dot2_f32_f16 v59, v66, v74, v59
	;;#ASMEND
	;;#ASMSTART
	v_dot2_f32_f16 v59, v67, v75, v59
	;;#ASMEND
	;;#ASMSTART
	v_dot2_f32_f16 v59, v68, v76, v59
	;;#ASMEND
	ds_read_b128 v[61:64], v26 offset:16
	ds_read_b128 v[65:68], v26 offset:4624
	ds_read_b128 v[69:72], v15 offset:144
	ds_read_b128 v[73:76], v15 offset:1296
	s_waitcnt lgkmcnt(1)
	;;#ASMSTART
	v_dot2_f32_f16 v10, v61, v69, v10
	;;#ASMEND
	;;#ASMSTART
	v_dot2_f32_f16 v10, v62, v70, v10
	;;#ASMEND
	;;#ASMSTART
	v_dot2_f32_f16 v10, v63, v71, v10
	;;#ASMEND
	;;#ASMSTART
	v_dot2_f32_f16 v10, v64, v72, v10
	;;#ASMEND
	s_waitcnt lgkmcnt(0)
	;;#ASMSTART
	v_dot2_f32_f16 v11, v61, v73, v11
	;;#ASMEND
	;;#ASMSTART
	v_dot2_f32_f16 v11, v62, v74, v11
	;;#ASMEND
	;;#ASMSTART
	v_dot2_f32_f16 v11, v63, v75, v11
	;;#ASMEND
	;;#ASMSTART
	v_dot2_f32_f16 v11, v64, v76, v11
	;;#ASMEND
	;;#ASMSTART
	v_dot2_f32_f16 v60, v65, v69, v60
	;;#ASMEND
	;;#ASMSTART
	v_dot2_f32_f16 v60, v66, v70, v60
	;;#ASMEND
	;;#ASMSTART
	v_dot2_f32_f16 v60, v67, v71, v60
	;;#ASMEND
	;;#ASMSTART
	v_dot2_f32_f16 v60, v68, v72, v60
	;;#ASMEND
	;;#ASMSTART
	v_dot2_f32_f16 v59, v65, v73, v59
	;;#ASMEND
	;;#ASMSTART
	v_dot2_f32_f16 v59, v66, v74, v59
	;;#ASMEND
	;;#ASMSTART
	v_dot2_f32_f16 v59, v67, v75, v59
	;;#ASMEND
	;;#ASMSTART
	v_dot2_f32_f16 v59, v68, v76, v59
	;;#ASMEND
	ds_read_b128 v[61:64], v26 offset:32
	;; [unrolled: 54-line block ×7, first 2 shown]
	ds_read_b128 v[65:68], v26 offset:4720
	ds_read_b128 v[69:72], v15 offset:240
	;; [unrolled: 1-line block ×3, first 2 shown]
	s_waitcnt lgkmcnt(1)
	;;#ASMSTART
	v_dot2_f32_f16 v10, v61, v69, v10
	;;#ASMEND
	;;#ASMSTART
	v_dot2_f32_f16 v10, v62, v70, v10
	;;#ASMEND
	;; [unrolled: 3-line block ×4, first 2 shown]
	s_waitcnt lgkmcnt(0)
	;;#ASMSTART
	v_dot2_f32_f16 v11, v61, v73, v11
	;;#ASMEND
	;;#ASMSTART
	v_dot2_f32_f16 v11, v62, v74, v11
	;;#ASMEND
	;; [unrolled: 3-line block ×12, first 2 shown]
	s_barrier
	global_load_dwordx4 v[61:64], v[1:2], off offset:256
	s_waitcnt vmcnt(0)
	ds_write_b128 v24, v[61:64]
	global_load_dwordx4 v[61:64], v[3:4], off offset:256
	s_waitcnt vmcnt(0)
	ds_write_b128 v25, v[61:64]
	s_waitcnt lgkmcnt(0)
	s_barrier
	ds_read_b128 v[61:64], v26
	ds_read_b128 v[65:68], v26 offset:4608
	ds_read_b128 v[69:72], v15 offset:256
	ds_read_b128 v[73:76], v15 offset:1408
	s_waitcnt lgkmcnt(1)
	;;#ASMSTART
	v_dot2_f32_f16 v10, v61, v69, v10
	;;#ASMEND
	;;#ASMSTART
	v_dot2_f32_f16 v10, v62, v70, v10
	;;#ASMEND
	;;#ASMSTART
	v_dot2_f32_f16 v10, v63, v71, v10
	;;#ASMEND
	;;#ASMSTART
	v_dot2_f32_f16 v10, v64, v72, v10
	;;#ASMEND
	s_waitcnt lgkmcnt(0)
	;;#ASMSTART
	v_dot2_f32_f16 v11, v61, v73, v11
	;;#ASMEND
	;;#ASMSTART
	v_dot2_f32_f16 v11, v62, v74, v11
	;;#ASMEND
	;;#ASMSTART
	v_dot2_f32_f16 v11, v63, v75, v11
	;;#ASMEND
	;;#ASMSTART
	v_dot2_f32_f16 v11, v64, v76, v11
	;;#ASMEND
	;;#ASMSTART
	v_dot2_f32_f16 v60, v65, v69, v60
	;;#ASMEND
	;;#ASMSTART
	v_dot2_f32_f16 v60, v66, v70, v60
	;;#ASMEND
	;;#ASMSTART
	v_dot2_f32_f16 v60, v67, v71, v60
	;;#ASMEND
	;;#ASMSTART
	v_dot2_f32_f16 v60, v68, v72, v60
	;;#ASMEND
	;;#ASMSTART
	v_dot2_f32_f16 v59, v65, v73, v59
	;;#ASMEND
	;;#ASMSTART
	v_dot2_f32_f16 v59, v66, v74, v59
	;;#ASMEND
	;;#ASMSTART
	v_dot2_f32_f16 v59, v67, v75, v59
	;;#ASMEND
	;;#ASMSTART
	v_dot2_f32_f16 v59, v68, v76, v59
	;;#ASMEND
	ds_read_b128 v[61:64], v26 offset:16
	ds_read_b128 v[65:68], v26 offset:4624
	ds_read_b128 v[69:72], v15 offset:272
	ds_read_b128 v[73:76], v15 offset:1424
	s_waitcnt lgkmcnt(1)
	;;#ASMSTART
	v_dot2_f32_f16 v10, v61, v69, v10
	;;#ASMEND
	;;#ASMSTART
	v_dot2_f32_f16 v10, v62, v70, v10
	;;#ASMEND
	;;#ASMSTART
	v_dot2_f32_f16 v10, v63, v71, v10
	;;#ASMEND
	;;#ASMSTART
	v_dot2_f32_f16 v10, v64, v72, v10
	;;#ASMEND
	s_waitcnt lgkmcnt(0)
	;;#ASMSTART
	v_dot2_f32_f16 v11, v61, v73, v11
	;;#ASMEND
	;;#ASMSTART
	v_dot2_f32_f16 v11, v62, v74, v11
	;;#ASMEND
	;;#ASMSTART
	v_dot2_f32_f16 v11, v63, v75, v11
	;;#ASMEND
	;;#ASMSTART
	v_dot2_f32_f16 v11, v64, v76, v11
	;;#ASMEND
	;;#ASMSTART
	v_dot2_f32_f16 v60, v65, v69, v60
	;;#ASMEND
	;;#ASMSTART
	v_dot2_f32_f16 v60, v66, v70, v60
	;;#ASMEND
	;;#ASMSTART
	v_dot2_f32_f16 v60, v67, v71, v60
	;;#ASMEND
	;;#ASMSTART
	v_dot2_f32_f16 v60, v68, v72, v60
	;;#ASMEND
	;;#ASMSTART
	v_dot2_f32_f16 v59, v65, v73, v59
	;;#ASMEND
	;;#ASMSTART
	v_dot2_f32_f16 v59, v66, v74, v59
	;;#ASMEND
	;;#ASMSTART
	v_dot2_f32_f16 v59, v67, v75, v59
	;;#ASMEND
	;;#ASMSTART
	v_dot2_f32_f16 v59, v68, v76, v59
	;;#ASMEND
	ds_read_b128 v[61:64], v26 offset:32
	;; [unrolled: 54-line block ×7, first 2 shown]
	ds_read_b128 v[65:68], v26 offset:4720
	ds_read_b128 v[69:72], v15 offset:368
	;; [unrolled: 1-line block ×3, first 2 shown]
	s_waitcnt lgkmcnt(1)
	;;#ASMSTART
	v_dot2_f32_f16 v10, v61, v69, v10
	;;#ASMEND
	;;#ASMSTART
	v_dot2_f32_f16 v10, v62, v70, v10
	;;#ASMEND
	;; [unrolled: 3-line block ×4, first 2 shown]
	s_waitcnt lgkmcnt(0)
	;;#ASMSTART
	v_dot2_f32_f16 v11, v61, v73, v11
	;;#ASMEND
	;;#ASMSTART
	v_dot2_f32_f16 v11, v62, v74, v11
	;;#ASMEND
	;; [unrolled: 3-line block ×12, first 2 shown]
	s_barrier
	global_load_dwordx4 v[61:64], v[1:2], off offset:384
	s_waitcnt vmcnt(0)
	ds_write_b128 v24, v[61:64]
	global_load_dwordx4 v[61:64], v[3:4], off offset:384
	s_waitcnt vmcnt(0)
	ds_write_b128 v25, v[61:64]
	s_waitcnt lgkmcnt(0)
	s_barrier
	ds_read_b128 v[61:64], v26
	ds_read_b128 v[65:68], v26 offset:4608
	ds_read_b128 v[69:72], v15 offset:384
	ds_read_b128 v[73:76], v15 offset:1536
	s_waitcnt lgkmcnt(1)
	;;#ASMSTART
	v_dot2_f32_f16 v10, v61, v69, v10
	;;#ASMEND
	;;#ASMSTART
	v_dot2_f32_f16 v10, v62, v70, v10
	;;#ASMEND
	;;#ASMSTART
	v_dot2_f32_f16 v10, v63, v71, v10
	;;#ASMEND
	;;#ASMSTART
	v_dot2_f32_f16 v10, v64, v72, v10
	;;#ASMEND
	s_waitcnt lgkmcnt(0)
	;;#ASMSTART
	v_dot2_f32_f16 v11, v61, v73, v11
	;;#ASMEND
	;;#ASMSTART
	v_dot2_f32_f16 v11, v62, v74, v11
	;;#ASMEND
	;;#ASMSTART
	v_dot2_f32_f16 v11, v63, v75, v11
	;;#ASMEND
	;;#ASMSTART
	v_dot2_f32_f16 v11, v64, v76, v11
	;;#ASMEND
	;;#ASMSTART
	v_dot2_f32_f16 v60, v65, v69, v60
	;;#ASMEND
	;;#ASMSTART
	v_dot2_f32_f16 v60, v66, v70, v60
	;;#ASMEND
	;;#ASMSTART
	v_dot2_f32_f16 v60, v67, v71, v60
	;;#ASMEND
	;;#ASMSTART
	v_dot2_f32_f16 v60, v68, v72, v60
	;;#ASMEND
	;;#ASMSTART
	v_dot2_f32_f16 v59, v65, v73, v59
	;;#ASMEND
	;;#ASMSTART
	v_dot2_f32_f16 v59, v66, v74, v59
	;;#ASMEND
	;;#ASMSTART
	v_dot2_f32_f16 v59, v67, v75, v59
	;;#ASMEND
	;;#ASMSTART
	v_dot2_f32_f16 v59, v68, v76, v59
	;;#ASMEND
	ds_read_b128 v[61:64], v26 offset:16
	ds_read_b128 v[65:68], v26 offset:4624
	ds_read_b128 v[69:72], v15 offset:400
	ds_read_b128 v[73:76], v15 offset:1552
	s_waitcnt lgkmcnt(1)
	;;#ASMSTART
	v_dot2_f32_f16 v10, v61, v69, v10
	;;#ASMEND
	;;#ASMSTART
	v_dot2_f32_f16 v10, v62, v70, v10
	;;#ASMEND
	;;#ASMSTART
	v_dot2_f32_f16 v10, v63, v71, v10
	;;#ASMEND
	;;#ASMSTART
	v_dot2_f32_f16 v10, v64, v72, v10
	;;#ASMEND
	s_waitcnt lgkmcnt(0)
	;;#ASMSTART
	v_dot2_f32_f16 v11, v61, v73, v11
	;;#ASMEND
	;;#ASMSTART
	v_dot2_f32_f16 v11, v62, v74, v11
	;;#ASMEND
	;;#ASMSTART
	v_dot2_f32_f16 v11, v63, v75, v11
	;;#ASMEND
	;;#ASMSTART
	v_dot2_f32_f16 v11, v64, v76, v11
	;;#ASMEND
	;;#ASMSTART
	v_dot2_f32_f16 v60, v65, v69, v60
	;;#ASMEND
	;;#ASMSTART
	v_dot2_f32_f16 v60, v66, v70, v60
	;;#ASMEND
	;;#ASMSTART
	v_dot2_f32_f16 v60, v67, v71, v60
	;;#ASMEND
	;;#ASMSTART
	v_dot2_f32_f16 v60, v68, v72, v60
	;;#ASMEND
	;;#ASMSTART
	v_dot2_f32_f16 v59, v65, v73, v59
	;;#ASMEND
	;;#ASMSTART
	v_dot2_f32_f16 v59, v66, v74, v59
	;;#ASMEND
	;;#ASMSTART
	v_dot2_f32_f16 v59, v67, v75, v59
	;;#ASMEND
	;;#ASMSTART
	v_dot2_f32_f16 v59, v68, v76, v59
	;;#ASMEND
	ds_read_b128 v[61:64], v26 offset:32
	;; [unrolled: 54-line block ×7, first 2 shown]
	ds_read_b128 v[65:68], v26 offset:4720
	ds_read_b128 v[69:72], v15 offset:496
	;; [unrolled: 1-line block ×3, first 2 shown]
	s_waitcnt lgkmcnt(1)
	;;#ASMSTART
	v_dot2_f32_f16 v10, v61, v69, v10
	;;#ASMEND
	;;#ASMSTART
	v_dot2_f32_f16 v10, v62, v70, v10
	;;#ASMEND
	;; [unrolled: 3-line block ×4, first 2 shown]
	s_waitcnt lgkmcnt(0)
	;;#ASMSTART
	v_dot2_f32_f16 v11, v61, v73, v11
	;;#ASMEND
	;;#ASMSTART
	v_dot2_f32_f16 v11, v62, v74, v11
	;;#ASMEND
	;; [unrolled: 3-line block ×12, first 2 shown]
	s_barrier
	global_load_dwordx4 v[61:64], v[1:2], off offset:512
	s_waitcnt vmcnt(0)
	ds_write_b128 v24, v[61:64]
	global_load_dwordx4 v[61:64], v[3:4], off offset:512
	s_waitcnt vmcnt(0)
	ds_write_b128 v25, v[61:64]
	s_waitcnt lgkmcnt(0)
	s_barrier
	ds_read_b128 v[61:64], v26
	ds_read_b128 v[65:68], v26 offset:4608
	ds_read_b128 v[69:72], v15 offset:512
	ds_read_b128 v[73:76], v15 offset:1664
	s_waitcnt lgkmcnt(1)
	;;#ASMSTART
	v_dot2_f32_f16 v10, v61, v69, v10
	;;#ASMEND
	;;#ASMSTART
	v_dot2_f32_f16 v10, v62, v70, v10
	;;#ASMEND
	;;#ASMSTART
	v_dot2_f32_f16 v10, v63, v71, v10
	;;#ASMEND
	;;#ASMSTART
	v_dot2_f32_f16 v10, v64, v72, v10
	;;#ASMEND
	s_waitcnt lgkmcnt(0)
	;;#ASMSTART
	v_dot2_f32_f16 v11, v61, v73, v11
	;;#ASMEND
	;;#ASMSTART
	v_dot2_f32_f16 v11, v62, v74, v11
	;;#ASMEND
	;;#ASMSTART
	v_dot2_f32_f16 v11, v63, v75, v11
	;;#ASMEND
	;;#ASMSTART
	v_dot2_f32_f16 v11, v64, v76, v11
	;;#ASMEND
	;;#ASMSTART
	v_dot2_f32_f16 v60, v65, v69, v60
	;;#ASMEND
	;;#ASMSTART
	v_dot2_f32_f16 v60, v66, v70, v60
	;;#ASMEND
	;;#ASMSTART
	v_dot2_f32_f16 v60, v67, v71, v60
	;;#ASMEND
	;;#ASMSTART
	v_dot2_f32_f16 v60, v68, v72, v60
	;;#ASMEND
	;;#ASMSTART
	v_dot2_f32_f16 v59, v65, v73, v59
	;;#ASMEND
	;;#ASMSTART
	v_dot2_f32_f16 v59, v66, v74, v59
	;;#ASMEND
	;;#ASMSTART
	v_dot2_f32_f16 v59, v67, v75, v59
	;;#ASMEND
	;;#ASMSTART
	v_dot2_f32_f16 v59, v68, v76, v59
	;;#ASMEND
	ds_read_b128 v[61:64], v26 offset:16
	ds_read_b128 v[65:68], v26 offset:4624
	ds_read_b128 v[69:72], v15 offset:528
	ds_read_b128 v[73:76], v15 offset:1680
	s_waitcnt lgkmcnt(1)
	;;#ASMSTART
	v_dot2_f32_f16 v10, v61, v69, v10
	;;#ASMEND
	;;#ASMSTART
	v_dot2_f32_f16 v10, v62, v70, v10
	;;#ASMEND
	;;#ASMSTART
	v_dot2_f32_f16 v10, v63, v71, v10
	;;#ASMEND
	;;#ASMSTART
	v_dot2_f32_f16 v10, v64, v72, v10
	;;#ASMEND
	s_waitcnt lgkmcnt(0)
	;;#ASMSTART
	v_dot2_f32_f16 v11, v61, v73, v11
	;;#ASMEND
	;;#ASMSTART
	v_dot2_f32_f16 v11, v62, v74, v11
	;;#ASMEND
	;;#ASMSTART
	v_dot2_f32_f16 v11, v63, v75, v11
	;;#ASMEND
	;;#ASMSTART
	v_dot2_f32_f16 v11, v64, v76, v11
	;;#ASMEND
	;;#ASMSTART
	v_dot2_f32_f16 v60, v65, v69, v60
	;;#ASMEND
	;;#ASMSTART
	v_dot2_f32_f16 v60, v66, v70, v60
	;;#ASMEND
	;;#ASMSTART
	v_dot2_f32_f16 v60, v67, v71, v60
	;;#ASMEND
	;;#ASMSTART
	v_dot2_f32_f16 v60, v68, v72, v60
	;;#ASMEND
	;;#ASMSTART
	v_dot2_f32_f16 v59, v65, v73, v59
	;;#ASMEND
	;;#ASMSTART
	v_dot2_f32_f16 v59, v66, v74, v59
	;;#ASMEND
	;;#ASMSTART
	v_dot2_f32_f16 v59, v67, v75, v59
	;;#ASMEND
	;;#ASMSTART
	v_dot2_f32_f16 v59, v68, v76, v59
	;;#ASMEND
	ds_read_b128 v[61:64], v26 offset:32
	;; [unrolled: 54-line block ×7, first 2 shown]
	ds_read_b128 v[65:68], v26 offset:4720
	ds_read_b128 v[69:72], v15 offset:624
	;; [unrolled: 1-line block ×3, first 2 shown]
	s_waitcnt lgkmcnt(1)
	;;#ASMSTART
	v_dot2_f32_f16 v10, v61, v69, v10
	;;#ASMEND
	;;#ASMSTART
	v_dot2_f32_f16 v10, v62, v70, v10
	;;#ASMEND
	;; [unrolled: 3-line block ×4, first 2 shown]
	s_waitcnt lgkmcnt(0)
	;;#ASMSTART
	v_dot2_f32_f16 v11, v61, v73, v11
	;;#ASMEND
	;;#ASMSTART
	v_dot2_f32_f16 v11, v62, v74, v11
	;;#ASMEND
	;; [unrolled: 3-line block ×12, first 2 shown]
	s_barrier
	global_load_dwordx4 v[61:64], v[1:2], off offset:640
	s_waitcnt vmcnt(0)
	ds_write_b128 v24, v[61:64]
	global_load_dwordx4 v[61:64], v[3:4], off offset:640
	s_waitcnt vmcnt(0)
	ds_write_b128 v25, v[61:64]
	s_waitcnt lgkmcnt(0)
	s_barrier
	ds_read_b128 v[61:64], v26
	ds_read_b128 v[65:68], v26 offset:4608
	ds_read_b128 v[69:72], v15 offset:640
	ds_read_b128 v[73:76], v15 offset:1792
	s_waitcnt lgkmcnt(1)
	;;#ASMSTART
	v_dot2_f32_f16 v10, v61, v69, v10
	;;#ASMEND
	;;#ASMSTART
	v_dot2_f32_f16 v10, v62, v70, v10
	;;#ASMEND
	;;#ASMSTART
	v_dot2_f32_f16 v10, v63, v71, v10
	;;#ASMEND
	;;#ASMSTART
	v_dot2_f32_f16 v10, v64, v72, v10
	;;#ASMEND
	s_waitcnt lgkmcnt(0)
	;;#ASMSTART
	v_dot2_f32_f16 v11, v61, v73, v11
	;;#ASMEND
	;;#ASMSTART
	v_dot2_f32_f16 v11, v62, v74, v11
	;;#ASMEND
	;;#ASMSTART
	v_dot2_f32_f16 v11, v63, v75, v11
	;;#ASMEND
	;;#ASMSTART
	v_dot2_f32_f16 v11, v64, v76, v11
	;;#ASMEND
	;;#ASMSTART
	v_dot2_f32_f16 v60, v65, v69, v60
	;;#ASMEND
	;;#ASMSTART
	v_dot2_f32_f16 v60, v66, v70, v60
	;;#ASMEND
	;;#ASMSTART
	v_dot2_f32_f16 v60, v67, v71, v60
	;;#ASMEND
	;;#ASMSTART
	v_dot2_f32_f16 v60, v68, v72, v60
	;;#ASMEND
	;;#ASMSTART
	v_dot2_f32_f16 v59, v65, v73, v59
	;;#ASMEND
	;;#ASMSTART
	v_dot2_f32_f16 v59, v66, v74, v59
	;;#ASMEND
	;;#ASMSTART
	v_dot2_f32_f16 v59, v67, v75, v59
	;;#ASMEND
	;;#ASMSTART
	v_dot2_f32_f16 v59, v68, v76, v59
	;;#ASMEND
	ds_read_b128 v[61:64], v26 offset:16
	ds_read_b128 v[65:68], v26 offset:4624
	ds_read_b128 v[69:72], v15 offset:656
	ds_read_b128 v[73:76], v15 offset:1808
	s_waitcnt lgkmcnt(1)
	;;#ASMSTART
	v_dot2_f32_f16 v10, v61, v69, v10
	;;#ASMEND
	;;#ASMSTART
	v_dot2_f32_f16 v10, v62, v70, v10
	;;#ASMEND
	;;#ASMSTART
	v_dot2_f32_f16 v10, v63, v71, v10
	;;#ASMEND
	;;#ASMSTART
	v_dot2_f32_f16 v10, v64, v72, v10
	;;#ASMEND
	s_waitcnt lgkmcnt(0)
	;;#ASMSTART
	v_dot2_f32_f16 v11, v61, v73, v11
	;;#ASMEND
	;;#ASMSTART
	v_dot2_f32_f16 v11, v62, v74, v11
	;;#ASMEND
	;;#ASMSTART
	v_dot2_f32_f16 v11, v63, v75, v11
	;;#ASMEND
	;;#ASMSTART
	v_dot2_f32_f16 v11, v64, v76, v11
	;;#ASMEND
	;;#ASMSTART
	v_dot2_f32_f16 v60, v65, v69, v60
	;;#ASMEND
	;;#ASMSTART
	v_dot2_f32_f16 v60, v66, v70, v60
	;;#ASMEND
	;;#ASMSTART
	v_dot2_f32_f16 v60, v67, v71, v60
	;;#ASMEND
	;;#ASMSTART
	v_dot2_f32_f16 v60, v68, v72, v60
	;;#ASMEND
	;;#ASMSTART
	v_dot2_f32_f16 v59, v65, v73, v59
	;;#ASMEND
	;;#ASMSTART
	v_dot2_f32_f16 v59, v66, v74, v59
	;;#ASMEND
	;;#ASMSTART
	v_dot2_f32_f16 v59, v67, v75, v59
	;;#ASMEND
	;;#ASMSTART
	v_dot2_f32_f16 v59, v68, v76, v59
	;;#ASMEND
	ds_read_b128 v[61:64], v26 offset:32
	;; [unrolled: 54-line block ×7, first 2 shown]
	ds_read_b128 v[65:68], v26 offset:4720
	ds_read_b128 v[69:72], v15 offset:752
	;; [unrolled: 1-line block ×3, first 2 shown]
	s_waitcnt lgkmcnt(1)
	;;#ASMSTART
	v_dot2_f32_f16 v10, v61, v69, v10
	;;#ASMEND
	;;#ASMSTART
	v_dot2_f32_f16 v10, v62, v70, v10
	;;#ASMEND
	;; [unrolled: 3-line block ×4, first 2 shown]
	s_waitcnt lgkmcnt(0)
	;;#ASMSTART
	v_dot2_f32_f16 v11, v61, v73, v11
	;;#ASMEND
	;;#ASMSTART
	v_dot2_f32_f16 v11, v62, v74, v11
	;;#ASMEND
	;;#ASMSTART
	v_dot2_f32_f16 v11, v63, v75, v11
	;;#ASMEND
	;;#ASMSTART
	v_dot2_f32_f16 v11, v64, v76, v11
	;;#ASMEND
	;;#ASMSTART
	v_dot2_f32_f16 v60, v65, v69, v60
	;;#ASMEND
	;;#ASMSTART
	v_dot2_f32_f16 v60, v66, v70, v60
	;;#ASMEND
	;;#ASMSTART
	v_dot2_f32_f16 v60, v67, v71, v60
	;;#ASMEND
	;;#ASMSTART
	v_dot2_f32_f16 v60, v68, v72, v60
	;;#ASMEND
	;;#ASMSTART
	v_dot2_f32_f16 v59, v65, v73, v59
	;;#ASMEND
	;;#ASMSTART
	v_dot2_f32_f16 v59, v66, v74, v59
	;;#ASMEND
	;;#ASMSTART
	v_dot2_f32_f16 v59, v67, v75, v59
	;;#ASMEND
	;;#ASMSTART
	v_dot2_f32_f16 v59, v68, v76, v59
	;;#ASMEND
	s_barrier
	global_load_dwordx4 v[61:64], v[1:2], off offset:768
	s_waitcnt vmcnt(0)
	ds_write_b128 v24, v[61:64]
	global_load_dwordx4 v[61:64], v[3:4], off offset:768
	s_waitcnt vmcnt(0)
	ds_write_b128 v25, v[61:64]
	s_waitcnt lgkmcnt(0)
	s_barrier
	ds_read_b128 v[61:64], v26
	ds_read_b128 v[65:68], v26 offset:4608
	ds_read_b128 v[69:72], v15 offset:768
	ds_read_b128 v[73:76], v15 offset:1920
	s_waitcnt lgkmcnt(1)
	;;#ASMSTART
	v_dot2_f32_f16 v10, v61, v69, v10
	;;#ASMEND
	;;#ASMSTART
	v_dot2_f32_f16 v10, v62, v70, v10
	;;#ASMEND
	;;#ASMSTART
	v_dot2_f32_f16 v10, v63, v71, v10
	;;#ASMEND
	;;#ASMSTART
	v_dot2_f32_f16 v10, v64, v72, v10
	;;#ASMEND
	s_waitcnt lgkmcnt(0)
	;;#ASMSTART
	v_dot2_f32_f16 v11, v61, v73, v11
	;;#ASMEND
	;;#ASMSTART
	v_dot2_f32_f16 v11, v62, v74, v11
	;;#ASMEND
	;;#ASMSTART
	v_dot2_f32_f16 v11, v63, v75, v11
	;;#ASMEND
	;;#ASMSTART
	v_dot2_f32_f16 v11, v64, v76, v11
	;;#ASMEND
	;;#ASMSTART
	v_dot2_f32_f16 v60, v65, v69, v60
	;;#ASMEND
	;;#ASMSTART
	v_dot2_f32_f16 v60, v66, v70, v60
	;;#ASMEND
	;;#ASMSTART
	v_dot2_f32_f16 v60, v67, v71, v60
	;;#ASMEND
	;;#ASMSTART
	v_dot2_f32_f16 v60, v68, v72, v60
	;;#ASMEND
	;;#ASMSTART
	v_dot2_f32_f16 v59, v65, v73, v59
	;;#ASMEND
	;;#ASMSTART
	v_dot2_f32_f16 v59, v66, v74, v59
	;;#ASMEND
	;;#ASMSTART
	v_dot2_f32_f16 v59, v67, v75, v59
	;;#ASMEND
	;;#ASMSTART
	v_dot2_f32_f16 v59, v68, v76, v59
	;;#ASMEND
	ds_read_b128 v[61:64], v26 offset:16
	ds_read_b128 v[65:68], v26 offset:4624
	ds_read_b128 v[69:72], v15 offset:784
	ds_read_b128 v[73:76], v15 offset:1936
	s_waitcnt lgkmcnt(1)
	;;#ASMSTART
	v_dot2_f32_f16 v10, v61, v69, v10
	;;#ASMEND
	;;#ASMSTART
	v_dot2_f32_f16 v10, v62, v70, v10
	;;#ASMEND
	;;#ASMSTART
	v_dot2_f32_f16 v10, v63, v71, v10
	;;#ASMEND
	;;#ASMSTART
	v_dot2_f32_f16 v10, v64, v72, v10
	;;#ASMEND
	s_waitcnt lgkmcnt(0)
	;;#ASMSTART
	v_dot2_f32_f16 v11, v61, v73, v11
	;;#ASMEND
	;;#ASMSTART
	v_dot2_f32_f16 v11, v62, v74, v11
	;;#ASMEND
	;;#ASMSTART
	v_dot2_f32_f16 v11, v63, v75, v11
	;;#ASMEND
	;;#ASMSTART
	v_dot2_f32_f16 v11, v64, v76, v11
	;;#ASMEND
	;;#ASMSTART
	v_dot2_f32_f16 v60, v65, v69, v60
	;;#ASMEND
	;;#ASMSTART
	v_dot2_f32_f16 v60, v66, v70, v60
	;;#ASMEND
	;;#ASMSTART
	v_dot2_f32_f16 v60, v67, v71, v60
	;;#ASMEND
	;;#ASMSTART
	v_dot2_f32_f16 v60, v68, v72, v60
	;;#ASMEND
	;;#ASMSTART
	v_dot2_f32_f16 v59, v65, v73, v59
	;;#ASMEND
	;;#ASMSTART
	v_dot2_f32_f16 v59, v66, v74, v59
	;;#ASMEND
	;;#ASMSTART
	v_dot2_f32_f16 v59, v67, v75, v59
	;;#ASMEND
	;;#ASMSTART
	v_dot2_f32_f16 v59, v68, v76, v59
	;;#ASMEND
	ds_read_b128 v[61:64], v26 offset:32
	;; [unrolled: 54-line block ×7, first 2 shown]
	ds_read_b128 v[65:68], v26 offset:4720
	ds_read_b128 v[69:72], v15 offset:880
	;; [unrolled: 1-line block ×3, first 2 shown]
	s_waitcnt lgkmcnt(1)
	;;#ASMSTART
	v_dot2_f32_f16 v10, v61, v69, v10
	;;#ASMEND
	;;#ASMSTART
	v_dot2_f32_f16 v10, v62, v70, v10
	;;#ASMEND
	;; [unrolled: 3-line block ×4, first 2 shown]
	s_waitcnt lgkmcnt(0)
	;;#ASMSTART
	v_dot2_f32_f16 v11, v61, v73, v11
	;;#ASMEND
	;;#ASMSTART
	v_dot2_f32_f16 v11, v62, v74, v11
	;;#ASMEND
	;; [unrolled: 3-line block ×12, first 2 shown]
	s_barrier
	global_load_dwordx4 v[61:64], v[1:2], off offset:896
	s_waitcnt vmcnt(0)
	ds_write_b128 v24, v[61:64]
	global_load_dwordx4 v[61:64], v[3:4], off offset:896
	s_waitcnt vmcnt(0)
	ds_write_b128 v25, v[61:64]
	s_waitcnt lgkmcnt(0)
	s_barrier
	ds_read_b128 v[61:64], v26
	ds_read_b128 v[65:68], v26 offset:4608
	ds_read_b128 v[69:72], v15 offset:896
	ds_read_b128 v[73:76], v15 offset:2048
	s_waitcnt lgkmcnt(1)
	;;#ASMSTART
	v_dot2_f32_f16 v10, v61, v69, v10
	;;#ASMEND
	;;#ASMSTART
	v_dot2_f32_f16 v10, v62, v70, v10
	;;#ASMEND
	;;#ASMSTART
	v_dot2_f32_f16 v10, v63, v71, v10
	;;#ASMEND
	;;#ASMSTART
	v_dot2_f32_f16 v10, v64, v72, v10
	;;#ASMEND
	s_waitcnt lgkmcnt(0)
	;;#ASMSTART
	v_dot2_f32_f16 v11, v61, v73, v11
	;;#ASMEND
	;;#ASMSTART
	v_dot2_f32_f16 v11, v62, v74, v11
	;;#ASMEND
	;;#ASMSTART
	v_dot2_f32_f16 v11, v63, v75, v11
	;;#ASMEND
	;;#ASMSTART
	v_dot2_f32_f16 v11, v64, v76, v11
	;;#ASMEND
	;;#ASMSTART
	v_dot2_f32_f16 v60, v65, v69, v60
	;;#ASMEND
	;;#ASMSTART
	v_dot2_f32_f16 v60, v66, v70, v60
	;;#ASMEND
	;;#ASMSTART
	v_dot2_f32_f16 v60, v67, v71, v60
	;;#ASMEND
	;;#ASMSTART
	v_dot2_f32_f16 v60, v68, v72, v60
	;;#ASMEND
	;;#ASMSTART
	v_dot2_f32_f16 v59, v65, v73, v59
	;;#ASMEND
	;;#ASMSTART
	v_dot2_f32_f16 v59, v66, v74, v59
	;;#ASMEND
	;;#ASMSTART
	v_dot2_f32_f16 v59, v67, v75, v59
	;;#ASMEND
	;;#ASMSTART
	v_dot2_f32_f16 v59, v68, v76, v59
	;;#ASMEND
	ds_read_b128 v[61:64], v26 offset:16
	ds_read_b128 v[65:68], v26 offset:4624
	ds_read_b128 v[69:72], v15 offset:912
	ds_read_b128 v[73:76], v15 offset:2064
	s_waitcnt lgkmcnt(1)
	;;#ASMSTART
	v_dot2_f32_f16 v10, v61, v69, v10
	;;#ASMEND
	;;#ASMSTART
	v_dot2_f32_f16 v10, v62, v70, v10
	;;#ASMEND
	;;#ASMSTART
	v_dot2_f32_f16 v10, v63, v71, v10
	;;#ASMEND
	;;#ASMSTART
	v_dot2_f32_f16 v10, v64, v72, v10
	;;#ASMEND
	s_waitcnt lgkmcnt(0)
	;;#ASMSTART
	v_dot2_f32_f16 v11, v61, v73, v11
	;;#ASMEND
	;;#ASMSTART
	v_dot2_f32_f16 v11, v62, v74, v11
	;;#ASMEND
	;;#ASMSTART
	v_dot2_f32_f16 v11, v63, v75, v11
	;;#ASMEND
	;;#ASMSTART
	v_dot2_f32_f16 v11, v64, v76, v11
	;;#ASMEND
	;;#ASMSTART
	v_dot2_f32_f16 v60, v65, v69, v60
	;;#ASMEND
	;;#ASMSTART
	v_dot2_f32_f16 v60, v66, v70, v60
	;;#ASMEND
	;;#ASMSTART
	v_dot2_f32_f16 v60, v67, v71, v60
	;;#ASMEND
	;;#ASMSTART
	v_dot2_f32_f16 v60, v68, v72, v60
	;;#ASMEND
	;;#ASMSTART
	v_dot2_f32_f16 v59, v65, v73, v59
	;;#ASMEND
	;;#ASMSTART
	v_dot2_f32_f16 v59, v66, v74, v59
	;;#ASMEND
	;;#ASMSTART
	v_dot2_f32_f16 v59, v67, v75, v59
	;;#ASMEND
	;;#ASMSTART
	v_dot2_f32_f16 v59, v68, v76, v59
	;;#ASMEND
	ds_read_b128 v[61:64], v26 offset:32
	;; [unrolled: 54-line block ×7, first 2 shown]
	ds_read_b128 v[65:68], v26 offset:4720
	ds_read_b128 v[69:72], v15 offset:1008
	;; [unrolled: 1-line block ×3, first 2 shown]
	s_waitcnt lgkmcnt(1)
	;;#ASMSTART
	v_dot2_f32_f16 v10, v61, v69, v10
	;;#ASMEND
	;;#ASMSTART
	v_dot2_f32_f16 v10, v62, v70, v10
	;;#ASMEND
	;;#ASMSTART
	v_dot2_f32_f16 v10, v63, v71, v10
	;;#ASMEND
	;;#ASMSTART
	v_dot2_f32_f16 v10, v64, v72, v10
	;;#ASMEND
	s_waitcnt lgkmcnt(0)
	;;#ASMSTART
	v_dot2_f32_f16 v11, v61, v73, v11
	;;#ASMEND
	;;#ASMSTART
	v_dot2_f32_f16 v11, v62, v74, v11
	;;#ASMEND
	;; [unrolled: 3-line block ×12, first 2 shown]
	s_barrier
	global_load_dwordx4 v[61:64], v[1:2], off offset:1024
	s_waitcnt vmcnt(0)
	ds_write_b128 v24, v[61:64]
	global_load_dwordx4 v[1:4], v[3:4], off offset:1024
	s_waitcnt vmcnt(0)
	ds_write_b128 v25, v[1:4]
	s_waitcnt lgkmcnt(0)
	s_barrier
	ds_read_b128 v[1:4], v26
	ds_read_b128 v[61:64], v26 offset:4608
	ds_read_b128 v[65:68], v15 offset:1024
	ds_read_b128 v[69:72], v15 offset:2176
	s_waitcnt lgkmcnt(1)
	;;#ASMSTART
	v_dot2_f32_f16 v10, v1, v65, v10
	;;#ASMEND
	;;#ASMSTART
	v_dot2_f32_f16 v10, v2, v66, v10
	;;#ASMEND
	;;#ASMSTART
	v_dot2_f32_f16 v10, v3, v67, v10
	;;#ASMEND
	;;#ASMSTART
	v_dot2_f32_f16 v10, v4, v68, v10
	;;#ASMEND
	s_waitcnt lgkmcnt(0)
	;;#ASMSTART
	v_dot2_f32_f16 v11, v1, v69, v11
	;;#ASMEND
	;;#ASMSTART
	v_dot2_f32_f16 v11, v2, v70, v11
	;;#ASMEND
	;;#ASMSTART
	v_dot2_f32_f16 v11, v3, v71, v11
	;;#ASMEND
	;;#ASMSTART
	v_dot2_f32_f16 v11, v4, v72, v11
	;;#ASMEND
	;;#ASMSTART
	v_dot2_f32_f16 v60, v61, v65, v60
	;;#ASMEND
	;;#ASMSTART
	v_dot2_f32_f16 v60, v62, v66, v60
	;;#ASMEND
	;;#ASMSTART
	v_dot2_f32_f16 v60, v63, v67, v60
	;;#ASMEND
	;;#ASMSTART
	v_dot2_f32_f16 v60, v64, v68, v60
	;;#ASMEND
	;;#ASMSTART
	v_dot2_f32_f16 v59, v61, v69, v59
	;;#ASMEND
	;;#ASMSTART
	v_dot2_f32_f16 v59, v62, v70, v59
	;;#ASMEND
	;;#ASMSTART
	v_dot2_f32_f16 v59, v63, v71, v59
	;;#ASMEND
	;;#ASMSTART
	v_dot2_f32_f16 v59, v64, v72, v59
	;;#ASMEND
	ds_read_b128 v[1:4], v26 offset:16
	ds_read_b128 v[61:64], v26 offset:4624
	ds_read_b128 v[65:68], v15 offset:1040
	ds_read_b128 v[69:72], v15 offset:2192
	s_waitcnt lgkmcnt(1)
	;;#ASMSTART
	v_dot2_f32_f16 v10, v1, v65, v10
	;;#ASMEND
	;;#ASMSTART
	v_dot2_f32_f16 v10, v2, v66, v10
	;;#ASMEND
	;;#ASMSTART
	v_dot2_f32_f16 v10, v3, v67, v10
	;;#ASMEND
	;;#ASMSTART
	v_dot2_f32_f16 v10, v4, v68, v10
	;;#ASMEND
	s_waitcnt lgkmcnt(0)
	;;#ASMSTART
	v_dot2_f32_f16 v11, v1, v69, v11
	;;#ASMEND
	;;#ASMSTART
	v_dot2_f32_f16 v11, v2, v70, v11
	;;#ASMEND
	;;#ASMSTART
	v_dot2_f32_f16 v11, v3, v71, v11
	;;#ASMEND
	;;#ASMSTART
	v_dot2_f32_f16 v11, v4, v72, v11
	;;#ASMEND
	;;#ASMSTART
	v_dot2_f32_f16 v60, v61, v65, v60
	;;#ASMEND
	;;#ASMSTART
	v_dot2_f32_f16 v60, v62, v66, v60
	;;#ASMEND
	;;#ASMSTART
	v_dot2_f32_f16 v60, v63, v67, v60
	;;#ASMEND
	;;#ASMSTART
	v_dot2_f32_f16 v60, v64, v68, v60
	;;#ASMEND
	;;#ASMSTART
	v_dot2_f32_f16 v59, v61, v69, v59
	;;#ASMEND
	;;#ASMSTART
	v_dot2_f32_f16 v59, v62, v70, v59
	;;#ASMEND
	;;#ASMSTART
	v_dot2_f32_f16 v59, v63, v71, v59
	;;#ASMEND
	;;#ASMSTART
	v_dot2_f32_f16 v59, v64, v72, v59
	;;#ASMEND
	ds_read_b128 v[1:4], v26 offset:32
	;; [unrolled: 54-line block ×7, first 2 shown]
	ds_read_b128 v[61:64], v26 offset:4720
	ds_read_b128 v[65:68], v15 offset:1136
	;; [unrolled: 1-line block ×3, first 2 shown]
	s_waitcnt lgkmcnt(1)
	;;#ASMSTART
	v_dot2_f32_f16 v10, v1, v65, v10
	;;#ASMEND
	;;#ASMSTART
	v_dot2_f32_f16 v10, v2, v66, v10
	;;#ASMEND
	;; [unrolled: 3-line block ×4, first 2 shown]
	s_waitcnt lgkmcnt(0)
	;;#ASMSTART
	v_dot2_f32_f16 v11, v1, v69, v11
	;;#ASMEND
	;;#ASMSTART
	v_dot2_f32_f16 v11, v2, v70, v11
	;;#ASMEND
	;; [unrolled: 3-line block ×5, first 2 shown]
	v_cndmask_b32_e32 v2, v16, v22, vcc
	v_cmp_lt_i32_e32 vcc, v21, v17
	;;#ASMSTART
	v_dot2_f32_f16 v60, v62, v66, v60
	;;#ASMEND
	v_lshlrev_b32_e32 v3, 2, v2
	v_cndmask_b32_e32 v2, v16, v21, vcc
	v_cmp_lt_i32_e32 vcc, v20, v17
	;;#ASMSTART
	v_dot2_f32_f16 v60, v63, v67, v60
	;;#ASMEND
	v_lshlrev_b32_e32 v4, 2, v2
	v_cndmask_b32_e32 v2, v16, v20, vcc
	v_cmp_lt_i32_e32 vcc, v19, v17
	;;#ASMSTART
	v_dot2_f32_f16 v60, v64, v68, v60
	;;#ASMEND
	;;#ASMSTART
	v_dot2_f32_f16 v59, v61, v69, v59
	;;#ASMEND
	v_lshlrev_b32_e32 v61, 2, v2
	v_cndmask_b32_e32 v2, v16, v19, vcc
	v_cmp_lt_i32_e32 vcc, v18, v17
	;;#ASMSTART
	v_dot2_f32_f16 v59, v62, v70, v59
	;;#ASMEND
	v_add_u32_e32 v1, s6, v5
	v_lshlrev_b32_e32 v62, 2, v2
	v_cndmask_b32_e32 v2, v16, v18, vcc
	;;#ASMSTART
	v_dot2_f32_f16 v59, v63, v71, v59
	;;#ASMEND
	v_lshlrev_b32_e32 v63, 2, v2
	v_ashrrev_i32_e32 v2, 31, v1
	v_lshlrev_b64 v[1:2], 1, v[1:2]
	;;#ASMSTART
	v_dot2_f32_f16 v59, v64, v72, v59
	;;#ASMEND
	v_add_co_u32_e32 v1, vcc, s26, v1
	v_addc_co_u32_e32 v2, vcc, v34, v2, vcc
	global_load_ushort v64, v[1:2], off
	s_waitcnt vmcnt(0)
	v_cvt_f32_f16_e32 v64, v64
	global_load_ushort v1, v[1:2], off offset:64
	s_waitcnt vmcnt(0)
	s_barrier
	v_add_f32_e32 v65, v10, v64
	v_add_f32_e32 v10, 0x40051340, v65
	;; [unrolled: 1-line block ×4, first 2 shown]
	v_cvt_f32_f16_e32 v1, v1
	v_add_f32_e32 v2, v60, v1
	v_add_f32_e32 v60, 0x40051340, v2
	;; [unrolled: 1-line block ×3, first 2 shown]
	v_max3_f32 v10, v40, v10, v60
	v_add_f32_e32 v1, 0x40051340, v66
	ds_bpermute_b32 v60, v3, v10
	v_max3_f32 v1, v57, v11, v1
	ds_bpermute_b32 v3, v3, v1
	s_waitcnt lgkmcnt(1)
	v_max_f32_e32 v60, v60, v60
	v_max_f32_e32 v10, v10, v60
	s_waitcnt lgkmcnt(0)
	v_max_f32_e32 v3, v3, v3
	ds_bpermute_b32 v60, v4, v10
	v_max_f32_e32 v1, v1, v3
	ds_bpermute_b32 v3, v4, v1
	s_waitcnt lgkmcnt(1)
	v_max_f32_e32 v60, v60, v60
	v_max_f32_e32 v10, v10, v60
	s_waitcnt lgkmcnt(0)
	v_max_f32_e32 v3, v3, v3
	ds_bpermute_b32 v60, v61, v10
	v_max_f32_e32 v1, v1, v3
	;; [unrolled: 8-line block ×4, first 2 shown]
	ds_bpermute_b32 v3, v63, v1
	s_waitcnt lgkmcnt(1)
	v_max_f32_e32 v60, v60, v60
	v_max_f32_e32 v10, v10, v60
	s_waitcnt lgkmcnt(0)
	v_max_f32_e32 v3, v3, v3
	v_max_f32_e32 v11, v1, v3
	v_sub_f32_e32 v3, v65, v10
	v_mul_f32_e32 v4, 0x3fb8aa3b, v3
	v_sub_f32_e32 v1, v40, v10
	v_fma_f32 v40, v3, s12, -v4
	v_rndne_f32_e32 v59, v4
	v_fmac_f32_e32 v40, 0x32a5705f, v3
	v_sub_f32_e32 v4, v4, v59
	v_add_f32_e32 v4, v4, v40
	v_exp_f32_e32 v4, v4
	v_cvt_i32_f32_e32 v40, v59
	v_cmp_ngt_f32_e32 vcc, s13, v3
	v_sub_f32_e32 v2, v2, v10
	v_ldexp_f32 v4, v4, v40
	v_cndmask_b32_e32 v4, 0, v4, vcc
	v_cmp_nlt_f32_e32 vcc, s14, v3
	v_cndmask_b32_e32 v3, v35, v4, vcc
	v_mul_f32_e32 v4, 0x3fb8aa3b, v2
	v_fma_f32 v40, v2, s12, -v4
	v_rndne_f32_e32 v59, v4
	v_fmac_f32_e32 v40, 0x32a5705f, v2
	v_sub_f32_e32 v4, v4, v59
	v_add_f32_e32 v4, v4, v40
	v_exp_f32_e32 v4, v4
	v_cvt_i32_f32_e32 v40, v59
	v_cmp_ngt_f32_e32 vcc, s13, v2
	v_cvt_f16_f32_e32 v60, v3
	v_ldexp_f32 v4, v4, v40
	v_cndmask_b32_e32 v4, 0, v4, vcc
	v_cmp_nlt_f32_e32 vcc, s14, v2
	v_cndmask_b32_e32 v2, v35, v4, vcc
	v_add_f32_e32 v40, v3, v2
	v_cvt_f16_f32_e32 v61, v2
	v_mul_f32_e32 v2, 0x3fb8aa3b, v1
	v_fma_f32 v3, v1, s12, -v2
	v_rndne_f32_e32 v4, v2
	v_fmac_f32_e32 v3, 0x32a5705f, v1
	v_sub_f32_e32 v2, v2, v4
	v_add_f32_e32 v2, v2, v3
	v_exp_f32_e32 v2, v2
	v_cvt_i32_f32_e32 v3, v4
	v_cmp_ngt_f32_e32 vcc, s13, v1
	v_ldexp_f32 v2, v2, v3
	v_cndmask_b32_e32 v2, 0, v2, vcc
	v_cmp_nlt_f32_e32 vcc, s14, v1
	v_cndmask_b32_e32 v1, v35, v2, vcc
	v_fmac_f32_e32 v40, v58, v1
	v_cvt_f16_f32_e32 v1, v1
	v_mul_u32_u24_e32 v59, 0x10001, v1
	v_pk_mul_f16 v2, v50, v59
	v_sub_f32_e32 v50, v64, v11
	v_pk_mul_f16 v1, v51, v59
	v_mul_f32_e32 v51, 0x3fb8aa3b, v50
	v_pk_mul_f16 v58, v56, v59
	v_pk_mul_f16 v56, v54, v59
	v_pk_mul_f16 v54, v55, v59
	v_pk_mul_f16 v4, v52, v59
	v_fma_f32 v52, v50, s12, -v51
	v_rndne_f32_e32 v55, v51
	v_fmac_f32_e32 v52, 0x32a5705f, v50
	v_sub_f32_e32 v51, v51, v55
	v_add_f32_e32 v51, v51, v52
	v_exp_f32_e32 v51, v51
	v_cvt_i32_f32_e32 v52, v55
	v_pk_mul_f16 v3, v53, v59
	v_sub_f32_e32 v53, v57, v11
	v_cmp_ngt_f32_e32 vcc, s13, v50
	v_ldexp_f32 v51, v51, v52
	v_sub_f32_e32 v52, v66, v11
	v_mul_f32_e32 v55, 0x3fb8aa3b, v52
	v_fma_f32 v57, v52, s12, -v55
	v_rndne_f32_e32 v62, v55
	v_fmac_f32_e32 v57, 0x32a5705f, v52
	v_sub_f32_e32 v55, v55, v62
	v_add_f32_e32 v55, v55, v57
	v_exp_f32_e32 v55, v55
	v_cvt_i32_f32_e32 v57, v62
	v_cndmask_b32_e32 v51, 0, v51, vcc
	v_cmp_nlt_f32_e32 vcc, s14, v50
	v_cndmask_b32_e32 v51, v35, v51, vcc
	v_ldexp_f32 v55, v55, v57
	v_cmp_ngt_f32_e32 vcc, s13, v52
	v_cndmask_b32_e32 v55, 0, v55, vcc
	v_cmp_nlt_f32_e32 vcc, s14, v52
	v_cndmask_b32_e32 v55, v35, v55, vcc
	v_cvt_f16_f32_e32 v50, v51
	v_add_f32_e32 v52, v51, v55
	v_cvt_f16_f32_e32 v51, v55
	v_mul_f32_e32 v55, 0x3fb8aa3b, v53
	v_fma_f32 v57, v53, s12, -v55
	v_rndne_f32_e32 v62, v55
	v_fmac_f32_e32 v57, 0x32a5705f, v53
	v_sub_f32_e32 v55, v55, v62
	v_add_f32_e32 v55, v55, v57
	v_exp_f32_e32 v55, v55
	v_cvt_i32_f32_e32 v57, v62
	v_cmp_ngt_f32_e32 vcc, s13, v53
	v_ldexp_f32 v55, v55, v57
	v_cndmask_b32_e32 v55, 0, v55, vcc
	v_cmp_nlt_f32_e32 vcc, s14, v53
	v_cndmask_b32_e32 v53, v35, v55, vcc
	v_mov_b32_e32 v55, v23
	v_mov_b32_e32 v23, v52
	v_cvt_f16_f32_e32 v52, v53
	v_fmac_f32_e32 v23, v55, v53
	v_mul_u32_u24_e32 v55, 0x10001, v52
	v_pk_mul_f16 v70, v44, v55
	v_pk_mul_f16 v72, v43, v55
	v_pack_b32_f16 v43, v60, v50
	v_pack_b32_f16 v44, v61, v51
	v_pk_mul_f16 v69, v47, v55
	ds_write2_b32 v36, v43, v44 offset1:32
	v_add_co_u32_e32 v47, vcc, s18, v31
	v_mov_b32_e32 v43, s19
	v_pk_mul_f16 v57, v48, v55
	v_addc_co_u32_e32 v48, vcc, v32, v43, vcc
	v_pk_mul_f16 v68, v46, v55
	v_pk_mul_f16 v71, v45, v55
	global_load_dwordx4 v[43:46], v[47:48], off
	v_pk_mul_f16 v41, v41, v55
	s_or_b32 s18, s6, 8
	s_mul_hi_i32 s19, s18, s8
	s_mul_i32 s18, s18, s8
	s_lshl_b64 s[18:19], s[18:19], 2
	s_waitcnt vmcnt(0)
	ds_write_b128 v28, v[43:46]
	global_load_dwordx4 v[43:46], v[47:48], off offset:512
	s_waitcnt vmcnt(0)
	ds_write_b128 v29, v[43:46]
	s_waitcnt lgkmcnt(0)
	s_barrier
	ds_read2_b64 v[43:46], v30 offset1:32
	ds_read2_b64 v[50:53], v30 offset0:64 offset1:96
	ds_read_b128 v[60:63], v27
	ds_read_b128 v[64:67], v27 offset:16
	s_waitcnt lgkmcnt(1)
	v_mul_u32_u24_sdwa v47, v60, s15 dst_sel:DWORD dst_unused:UNUSED_PAD src0_sel:WORD_0 src1_sel:DWORD
	v_mul_u32_u24_sdwa v48, v60, s15 dst_sel:DWORD dst_unused:UNUSED_PAD src0_sel:WORD_1 src1_sel:DWORD
	v_pk_mul_f16 v60, v43, v47
	v_pk_mul_f16 v43, v43, v48
	v_pk_fma_f16 v49, v49, v59, v60
	v_pk_fma_f16 v55, v42, v55, v43
	;; [unrolled: 1-line block ×16, first 2 shown]
	ds_read2_b64 v[1:4], v30 offset0:128 offset1:160
	ds_read2_b64 v[41:44], v30 offset0:192 offset1:224
	v_mul_u32_u24_sdwa v53, v61, s15 dst_sel:DWORD dst_unused:UNUSED_PAD src0_sel:WORD_0 src1_sel:DWORD
	v_mul_u32_u24_sdwa v61, v61, s15 dst_sel:DWORD dst_unused:UNUSED_PAD src0_sel:WORD_1 src1_sel:DWORD
	s_waitcnt lgkmcnt(1)
	v_pk_fma_f16 v49, v1, v53, v49
	v_pk_fma_f16 v55, v1, v61, v55
	;; [unrolled: 1-line block ×8, first 2 shown]
	s_waitcnt lgkmcnt(0)
	v_pk_fma_f16 v59, v41, v53, v59
	v_pk_fma_f16 v50, v41, v61, v50
	v_pk_fma_f16 v60, v42, v53, v60
	v_pk_fma_f16 v51, v42, v61, v51
	v_pk_fma_f16 v68, v43, v53, v68
	v_pk_fma_f16 v52, v43, v61, v52
	v_pk_fma_f16 v47, v44, v53, v47
	v_pk_fma_f16 v48, v44, v61, v48
	ds_read2_b64 v[1:4], v37 offset1:32
	ds_read2_b64 v[41:44], v37 offset0:64 offset1:96
	v_mul_u32_u24_sdwa v53, v62, s15 dst_sel:DWORD dst_unused:UNUSED_PAD src0_sel:WORD_0 src1_sel:DWORD
	v_mul_u32_u24_sdwa v61, v62, s15 dst_sel:DWORD dst_unused:UNUSED_PAD src0_sel:WORD_1 src1_sel:DWORD
	s_waitcnt lgkmcnt(1)
	v_pk_fma_f16 v49, v1, v53, v49
	v_pk_fma_f16 v55, v1, v61, v55
	;; [unrolled: 1-line block ×8, first 2 shown]
	s_waitcnt lgkmcnt(0)
	v_pk_fma_f16 v59, v41, v53, v59
	v_pk_fma_f16 v50, v41, v61, v50
	;; [unrolled: 1-line block ×8, first 2 shown]
	ds_read2_b64 v[1:4], v37 offset0:128 offset1:160
	ds_read2_b64 v[41:44], v37 offset0:192 offset1:224
	v_mul_u32_u24_sdwa v53, v63, s15 dst_sel:DWORD dst_unused:UNUSED_PAD src0_sel:WORD_0 src1_sel:DWORD
	v_mul_u32_u24_sdwa v61, v63, s15 dst_sel:DWORD dst_unused:UNUSED_PAD src0_sel:WORD_1 src1_sel:DWORD
	v_mul_u32_u24_sdwa v68, v67, s15 dst_sel:DWORD dst_unused:UNUSED_PAD src0_sel:WORD_0 src1_sel:DWORD
	s_waitcnt lgkmcnt(1)
	v_pk_fma_f16 v49, v1, v53, v49
	v_pk_fma_f16 v55, v1, v61, v55
	;; [unrolled: 1-line block ×8, first 2 shown]
	s_waitcnt lgkmcnt(0)
	v_pk_fma_f16 v59, v41, v53, v59
	v_pk_fma_f16 v50, v41, v61, v50
	;; [unrolled: 1-line block ×8, first 2 shown]
	ds_read2_b64 v[1:4], v38 offset1:32
	ds_read2_b64 v[41:44], v38 offset0:64 offset1:96
	v_mul_u32_u24_sdwa v53, v64, s15 dst_sel:DWORD dst_unused:UNUSED_PAD src0_sel:WORD_0 src1_sel:DWORD
	v_mul_u32_u24_sdwa v61, v64, s15 dst_sel:DWORD dst_unused:UNUSED_PAD src0_sel:WORD_1 src1_sel:DWORD
	v_mul_u32_u24_sdwa v67, v67, s15 dst_sel:DWORD dst_unused:UNUSED_PAD src0_sel:WORD_1 src1_sel:DWORD
	s_waitcnt lgkmcnt(1)
	v_pk_fma_f16 v49, v1, v53, v49
	v_pk_fma_f16 v55, v1, v61, v55
	;; [unrolled: 1-line block ×8, first 2 shown]
	s_waitcnt lgkmcnt(0)
	v_pk_fma_f16 v59, v41, v53, v59
	v_pk_fma_f16 v50, v41, v61, v50
	;; [unrolled: 1-line block ×8, first 2 shown]
	ds_read2_b64 v[1:4], v38 offset0:128 offset1:160
	ds_read2_b64 v[41:44], v38 offset0:192 offset1:224
	v_mul_u32_u24_sdwa v53, v65, s15 dst_sel:DWORD dst_unused:UNUSED_PAD src0_sel:WORD_0 src1_sel:DWORD
	v_mul_u32_u24_sdwa v61, v65, s15 dst_sel:DWORD dst_unused:UNUSED_PAD src0_sel:WORD_1 src1_sel:DWORD
	s_waitcnt lgkmcnt(1)
	v_pk_fma_f16 v49, v1, v53, v49
	v_pk_fma_f16 v55, v1, v61, v55
	;; [unrolled: 1-line block ×8, first 2 shown]
	s_waitcnt lgkmcnt(0)
	v_pk_fma_f16 v59, v41, v53, v59
	v_pk_fma_f16 v50, v41, v61, v50
	;; [unrolled: 1-line block ×8, first 2 shown]
	ds_read2_b64 v[1:4], v39 offset1:32
	ds_read2_b64 v[41:44], v39 offset0:64 offset1:96
	v_mul_u32_u24_sdwa v53, v66, s15 dst_sel:DWORD dst_unused:UNUSED_PAD src0_sel:WORD_0 src1_sel:DWORD
	v_mul_u32_u24_sdwa v61, v66, s15 dst_sel:DWORD dst_unused:UNUSED_PAD src0_sel:WORD_1 src1_sel:DWORD
	s_waitcnt lgkmcnt(1)
	v_pk_fma_f16 v63, v1, v53, v49
	v_pk_fma_f16 v55, v1, v61, v55
	;; [unrolled: 1-line block ×8, first 2 shown]
	s_waitcnt lgkmcnt(0)
	v_pk_fma_f16 v59, v41, v53, v59
	v_pk_fma_f16 v64, v41, v61, v50
	;; [unrolled: 1-line block ×8, first 2 shown]
	ds_read2_b64 v[41:44], v39 offset0:128 offset1:160
	ds_read2_b64 v[49:52], v39 offset0:192 offset1:224
	s_waitcnt lgkmcnt(0)
	s_barrier
	v_pk_fma_f16 v1, v41, v68, v63
	v_pk_fma_f16 v2, v41, v67, v55
	;; [unrolled: 1-line block ×15, first 2 shown]
	v_add_co_u32_e32 v57, vcc, s18, v31
	v_mov_b32_e32 v53, s19
	v_addc_co_u32_e32 v58, vcc, v32, v53, vcc
	global_load_dwordx4 v[53:56], v[57:58], off
	v_pk_fma_f16 v52, v52, v67, v61
	s_or_b32 s18, s6, 16
	s_mul_hi_i32 s19, s18, s8
	s_mul_i32 s18, s18, s8
	s_lshl_b64 s[18:19], s[18:19], 2
	s_waitcnt vmcnt(0)
	ds_write_b128 v28, v[53:56]
	global_load_dwordx4 v[53:56], v[57:58], off offset:512
	s_waitcnt vmcnt(0)
	ds_write_b128 v29, v[53:56]
	s_waitcnt lgkmcnt(0)
	s_barrier
	ds_read2_b64 v[53:56], v30 offset1:32
	ds_read2_b64 v[57:60], v30 offset0:64 offset1:96
	ds_read_b128 v[61:64], v27 offset:32
	ds_read_b128 v[65:68], v27 offset:48
	s_waitcnt lgkmcnt(1)
	v_mul_u32_u24_sdwa v69, v61, s15 dst_sel:DWORD dst_unused:UNUSED_PAD src0_sel:WORD_0 src1_sel:DWORD
	v_mul_u32_u24_sdwa v61, v61, s15 dst_sel:DWORD dst_unused:UNUSED_PAD src0_sel:WORD_1 src1_sel:DWORD
	v_pk_fma_f16 v70, v53, v69, v1
	v_pk_fma_f16 v53, v53, v61, v2
	;; [unrolled: 1-line block ×8, first 2 shown]
	ds_read2_b64 v[1:4], v30 offset0:128 offset1:160
	ds_read2_b64 v[41:44], v30 offset0:192 offset1:224
	v_pk_fma_f16 v45, v57, v69, v45
	v_pk_fma_f16 v46, v57, v61, v46
	v_pk_fma_f16 v47, v58, v69, v47
	v_pk_fma_f16 v48, v58, v61, v48
	v_pk_fma_f16 v49, v59, v69, v49
	v_pk_fma_f16 v50, v59, v61, v50
	v_pk_fma_f16 v51, v60, v69, v51
	v_pk_fma_f16 v52, v60, v61, v52
	v_mul_u32_u24_sdwa v57, v62, s15 dst_sel:DWORD dst_unused:UNUSED_PAD src0_sel:WORD_0 src1_sel:DWORD
	v_mul_u32_u24_sdwa v58, v62, s15 dst_sel:DWORD dst_unused:UNUSED_PAD src0_sel:WORD_1 src1_sel:DWORD
	s_waitcnt lgkmcnt(1)
	v_pk_fma_f16 v59, v1, v57, v70
	v_pk_fma_f16 v53, v1, v58, v53
	;; [unrolled: 1-line block ×8, first 2 shown]
	s_waitcnt lgkmcnt(0)
	v_pk_fma_f16 v45, v41, v57, v45
	v_pk_fma_f16 v46, v41, v58, v46
	;; [unrolled: 1-line block ×8, first 2 shown]
	ds_read2_b64 v[1:4], v37 offset1:32
	ds_read2_b64 v[41:44], v37 offset0:64 offset1:96
	v_mul_u32_u24_sdwa v57, v63, s15 dst_sel:DWORD dst_unused:UNUSED_PAD src0_sel:WORD_0 src1_sel:DWORD
	v_mul_u32_u24_sdwa v58, v63, s15 dst_sel:DWORD dst_unused:UNUSED_PAD src0_sel:WORD_1 src1_sel:DWORD
	s_waitcnt lgkmcnt(1)
	v_pk_fma_f16 v59, v1, v57, v59
	v_pk_fma_f16 v53, v1, v58, v53
	;; [unrolled: 1-line block ×8, first 2 shown]
	s_waitcnt lgkmcnt(0)
	v_pk_fma_f16 v45, v41, v57, v45
	v_pk_fma_f16 v46, v41, v58, v46
	;; [unrolled: 1-line block ×8, first 2 shown]
	ds_read2_b64 v[1:4], v37 offset0:128 offset1:160
	ds_read2_b64 v[41:44], v37 offset0:192 offset1:224
	v_mul_u32_u24_sdwa v57, v64, s15 dst_sel:DWORD dst_unused:UNUSED_PAD src0_sel:WORD_0 src1_sel:DWORD
	v_mul_u32_u24_sdwa v58, v64, s15 dst_sel:DWORD dst_unused:UNUSED_PAD src0_sel:WORD_1 src1_sel:DWORD
	s_waitcnt lgkmcnt(1)
	v_pk_fma_f16 v59, v1, v57, v59
	v_pk_fma_f16 v53, v1, v58, v53
	;; [unrolled: 1-line block ×8, first 2 shown]
	s_waitcnt lgkmcnt(0)
	v_pk_fma_f16 v45, v41, v57, v45
	v_pk_fma_f16 v46, v41, v58, v46
	;; [unrolled: 1-line block ×8, first 2 shown]
	ds_read2_b64 v[1:4], v38 offset1:32
	ds_read2_b64 v[41:44], v38 offset0:64 offset1:96
	v_mul_u32_u24_sdwa v57, v65, s15 dst_sel:DWORD dst_unused:UNUSED_PAD src0_sel:WORD_0 src1_sel:DWORD
	v_mul_u32_u24_sdwa v58, v65, s15 dst_sel:DWORD dst_unused:UNUSED_PAD src0_sel:WORD_1 src1_sel:DWORD
	v_mul_u32_u24_sdwa v65, v68, s15 dst_sel:DWORD dst_unused:UNUSED_PAD src0_sel:WORD_0 src1_sel:DWORD
	s_waitcnt lgkmcnt(1)
	v_pk_fma_f16 v59, v1, v57, v59
	v_pk_fma_f16 v53, v1, v58, v53
	;; [unrolled: 1-line block ×8, first 2 shown]
	s_waitcnt lgkmcnt(0)
	v_pk_fma_f16 v45, v41, v57, v45
	v_pk_fma_f16 v46, v41, v58, v46
	;; [unrolled: 1-line block ×8, first 2 shown]
	ds_read2_b64 v[1:4], v38 offset0:128 offset1:160
	ds_read2_b64 v[41:44], v38 offset0:192 offset1:224
	v_mul_u32_u24_sdwa v57, v66, s15 dst_sel:DWORD dst_unused:UNUSED_PAD src0_sel:WORD_0 src1_sel:DWORD
	v_mul_u32_u24_sdwa v58, v66, s15 dst_sel:DWORD dst_unused:UNUSED_PAD src0_sel:WORD_1 src1_sel:DWORD
	v_mul_u32_u24_sdwa v66, v68, s15 dst_sel:DWORD dst_unused:UNUSED_PAD src0_sel:WORD_1 src1_sel:DWORD
	s_waitcnt lgkmcnt(1)
	v_pk_fma_f16 v59, v1, v57, v59
	v_pk_fma_f16 v53, v1, v58, v53
	;; [unrolled: 1-line block ×8, first 2 shown]
	s_waitcnt lgkmcnt(0)
	v_pk_fma_f16 v45, v41, v57, v45
	v_pk_fma_f16 v46, v41, v58, v46
	;; [unrolled: 1-line block ×8, first 2 shown]
	ds_read2_b64 v[1:4], v39 offset1:32
	ds_read2_b64 v[41:44], v39 offset0:64 offset1:96
	v_mul_u32_u24_sdwa v57, v67, s15 dst_sel:DWORD dst_unused:UNUSED_PAD src0_sel:WORD_0 src1_sel:DWORD
	v_mul_u32_u24_sdwa v58, v67, s15 dst_sel:DWORD dst_unused:UNUSED_PAD src0_sel:WORD_1 src1_sel:DWORD
	s_waitcnt lgkmcnt(1)
	v_pk_fma_f16 v59, v1, v57, v59
	v_pk_fma_f16 v53, v1, v58, v53
	;; [unrolled: 1-line block ×8, first 2 shown]
	s_waitcnt lgkmcnt(0)
	v_pk_fma_f16 v45, v41, v57, v45
	v_pk_fma_f16 v46, v41, v58, v46
	;; [unrolled: 1-line block ×8, first 2 shown]
	ds_read2_b64 v[41:44], v39 offset0:128 offset1:160
	ds_read2_b64 v[49:52], v39 offset0:192 offset1:224
	s_waitcnt lgkmcnt(0)
	s_barrier
	v_pk_fma_f16 v2, v41, v66, v53
	v_pk_fma_f16 v45, v49, v65, v45
	v_pk_fma_f16 v46, v49, v66, v46
	v_pk_fma_f16 v47, v50, v65, v47
	v_pk_fma_f16 v48, v50, v66, v48
	v_pk_fma_f16 v49, v51, v65, v63
	v_pk_fma_f16 v50, v51, v66, v64
	v_pk_fma_f16 v51, v52, v65, v57
	v_add_co_u32_e32 v57, vcc, s18, v31
	v_mov_b32_e32 v53, s19
	v_pk_fma_f16 v52, v52, v66, v58
	v_addc_co_u32_e32 v58, vcc, v32, v53, vcc
	v_pk_fma_f16 v1, v41, v65, v59
	v_pk_fma_f16 v3, v42, v65, v60
	;; [unrolled: 1-line block ×7, first 2 shown]
	global_load_dwordx4 v[53:56], v[57:58], off
	s_or_b32 s18, s6, 24
	s_mul_hi_i32 s19, s18, s8
	s_mul_i32 s18, s18, s8
	s_lshl_b64 s[18:19], s[18:19], 2
	s_waitcnt vmcnt(0)
	ds_write_b128 v28, v[53:56]
	global_load_dwordx4 v[53:56], v[57:58], off offset:512
	s_waitcnt vmcnt(0)
	ds_write_b128 v29, v[53:56]
	s_waitcnt lgkmcnt(0)
	s_barrier
	ds_read2_b64 v[53:56], v30 offset1:32
	ds_read2_b64 v[57:60], v30 offset0:64 offset1:96
	ds_read_b128 v[61:64], v27 offset:64
	ds_read_b128 v[65:68], v27 offset:80
	s_waitcnt lgkmcnt(1)
	v_mul_u32_u24_sdwa v69, v61, s15 dst_sel:DWORD dst_unused:UNUSED_PAD src0_sel:WORD_0 src1_sel:DWORD
	v_mul_u32_u24_sdwa v61, v61, s15 dst_sel:DWORD dst_unused:UNUSED_PAD src0_sel:WORD_1 src1_sel:DWORD
	v_pk_fma_f16 v70, v53, v69, v1
	v_pk_fma_f16 v53, v53, v61, v2
	;; [unrolled: 1-line block ×8, first 2 shown]
	ds_read2_b64 v[1:4], v30 offset0:128 offset1:160
	ds_read2_b64 v[41:44], v30 offset0:192 offset1:224
	v_pk_fma_f16 v45, v57, v69, v45
	v_pk_fma_f16 v46, v57, v61, v46
	;; [unrolled: 1-line block ×8, first 2 shown]
	v_mul_u32_u24_sdwa v57, v62, s15 dst_sel:DWORD dst_unused:UNUSED_PAD src0_sel:WORD_0 src1_sel:DWORD
	v_mul_u32_u24_sdwa v58, v62, s15 dst_sel:DWORD dst_unused:UNUSED_PAD src0_sel:WORD_1 src1_sel:DWORD
	s_waitcnt lgkmcnt(1)
	v_pk_fma_f16 v59, v1, v57, v70
	v_pk_fma_f16 v53, v1, v58, v53
	;; [unrolled: 1-line block ×8, first 2 shown]
	s_waitcnt lgkmcnt(0)
	v_pk_fma_f16 v45, v41, v57, v45
	v_pk_fma_f16 v46, v41, v58, v46
	;; [unrolled: 1-line block ×8, first 2 shown]
	ds_read2_b64 v[1:4], v37 offset1:32
	ds_read2_b64 v[41:44], v37 offset0:64 offset1:96
	v_mul_u32_u24_sdwa v57, v63, s15 dst_sel:DWORD dst_unused:UNUSED_PAD src0_sel:WORD_0 src1_sel:DWORD
	v_mul_u32_u24_sdwa v58, v63, s15 dst_sel:DWORD dst_unused:UNUSED_PAD src0_sel:WORD_1 src1_sel:DWORD
	s_waitcnt lgkmcnt(1)
	v_pk_fma_f16 v59, v1, v57, v59
	v_pk_fma_f16 v53, v1, v58, v53
	;; [unrolled: 1-line block ×8, first 2 shown]
	s_waitcnt lgkmcnt(0)
	v_pk_fma_f16 v45, v41, v57, v45
	v_pk_fma_f16 v46, v41, v58, v46
	;; [unrolled: 1-line block ×8, first 2 shown]
	ds_read2_b64 v[1:4], v37 offset0:128 offset1:160
	ds_read2_b64 v[41:44], v37 offset0:192 offset1:224
	v_mul_u32_u24_sdwa v57, v64, s15 dst_sel:DWORD dst_unused:UNUSED_PAD src0_sel:WORD_0 src1_sel:DWORD
	v_mul_u32_u24_sdwa v58, v64, s15 dst_sel:DWORD dst_unused:UNUSED_PAD src0_sel:WORD_1 src1_sel:DWORD
	s_waitcnt lgkmcnt(1)
	v_pk_fma_f16 v59, v1, v57, v59
	v_pk_fma_f16 v53, v1, v58, v53
	;; [unrolled: 1-line block ×8, first 2 shown]
	s_waitcnt lgkmcnt(0)
	v_pk_fma_f16 v45, v41, v57, v45
	v_pk_fma_f16 v46, v41, v58, v46
	;; [unrolled: 1-line block ×8, first 2 shown]
	ds_read2_b64 v[1:4], v38 offset1:32
	ds_read2_b64 v[41:44], v38 offset0:64 offset1:96
	v_mul_u32_u24_sdwa v57, v65, s15 dst_sel:DWORD dst_unused:UNUSED_PAD src0_sel:WORD_0 src1_sel:DWORD
	v_mul_u32_u24_sdwa v58, v65, s15 dst_sel:DWORD dst_unused:UNUSED_PAD src0_sel:WORD_1 src1_sel:DWORD
	v_mul_u32_u24_sdwa v65, v68, s15 dst_sel:DWORD dst_unused:UNUSED_PAD src0_sel:WORD_0 src1_sel:DWORD
	s_waitcnt lgkmcnt(1)
	v_pk_fma_f16 v59, v1, v57, v59
	v_pk_fma_f16 v53, v1, v58, v53
	;; [unrolled: 1-line block ×8, first 2 shown]
	s_waitcnt lgkmcnt(0)
	v_pk_fma_f16 v45, v41, v57, v45
	v_pk_fma_f16 v46, v41, v58, v46
	;; [unrolled: 1-line block ×8, first 2 shown]
	ds_read2_b64 v[1:4], v38 offset0:128 offset1:160
	ds_read2_b64 v[41:44], v38 offset0:192 offset1:224
	v_mul_u32_u24_sdwa v57, v66, s15 dst_sel:DWORD dst_unused:UNUSED_PAD src0_sel:WORD_0 src1_sel:DWORD
	v_mul_u32_u24_sdwa v58, v66, s15 dst_sel:DWORD dst_unused:UNUSED_PAD src0_sel:WORD_1 src1_sel:DWORD
	v_mul_u32_u24_sdwa v66, v68, s15 dst_sel:DWORD dst_unused:UNUSED_PAD src0_sel:WORD_1 src1_sel:DWORD
	s_waitcnt lgkmcnt(1)
	v_pk_fma_f16 v59, v1, v57, v59
	v_pk_fma_f16 v53, v1, v58, v53
	;; [unrolled: 1-line block ×8, first 2 shown]
	s_waitcnt lgkmcnt(0)
	v_pk_fma_f16 v45, v41, v57, v45
	v_pk_fma_f16 v46, v41, v58, v46
	;; [unrolled: 1-line block ×8, first 2 shown]
	ds_read2_b64 v[1:4], v39 offset1:32
	ds_read2_b64 v[41:44], v39 offset0:64 offset1:96
	v_mul_u32_u24_sdwa v57, v67, s15 dst_sel:DWORD dst_unused:UNUSED_PAD src0_sel:WORD_0 src1_sel:DWORD
	v_mul_u32_u24_sdwa v58, v67, s15 dst_sel:DWORD dst_unused:UNUSED_PAD src0_sel:WORD_1 src1_sel:DWORD
	s_waitcnt lgkmcnt(1)
	v_pk_fma_f16 v59, v1, v57, v59
	v_pk_fma_f16 v53, v1, v58, v53
	;; [unrolled: 1-line block ×8, first 2 shown]
	s_waitcnt lgkmcnt(0)
	v_pk_fma_f16 v45, v41, v57, v45
	v_pk_fma_f16 v46, v41, v58, v46
	;; [unrolled: 1-line block ×8, first 2 shown]
	ds_read2_b64 v[41:44], v39 offset0:128 offset1:160
	ds_read2_b64 v[49:52], v39 offset0:192 offset1:224
	s_waitcnt lgkmcnt(0)
	s_barrier
	v_pk_fma_f16 v2, v41, v66, v53
	v_pk_fma_f16 v45, v49, v65, v45
	;; [unrolled: 1-line block ×8, first 2 shown]
	v_add_co_u32_e32 v57, vcc, s18, v31
	v_mov_b32_e32 v53, s19
	v_pk_fma_f16 v52, v52, v66, v58
	v_addc_co_u32_e32 v58, vcc, v32, v53, vcc
	v_pk_fma_f16 v1, v41, v65, v59
	v_pk_fma_f16 v3, v42, v65, v60
	;; [unrolled: 1-line block ×7, first 2 shown]
	global_load_dwordx4 v[53:56], v[57:58], off
	s_or_b32 s18, s6, 32
	s_mul_hi_i32 s19, s18, s8
	s_mul_i32 s18, s18, s8
	s_lshl_b64 s[18:19], s[18:19], 2
	s_waitcnt vmcnt(0)
	ds_write_b128 v28, v[53:56]
	global_load_dwordx4 v[53:56], v[57:58], off offset:512
	s_waitcnt vmcnt(0)
	ds_write_b128 v29, v[53:56]
	s_waitcnt lgkmcnt(0)
	s_barrier
	ds_read2_b64 v[53:56], v30 offset1:32
	ds_read2_b64 v[57:60], v30 offset0:64 offset1:96
	ds_read_b128 v[61:64], v27 offset:96
	ds_read_b128 v[65:68], v27 offset:112
	s_waitcnt lgkmcnt(1)
	v_mul_u32_u24_sdwa v69, v61, s15 dst_sel:DWORD dst_unused:UNUSED_PAD src0_sel:WORD_0 src1_sel:DWORD
	v_mul_u32_u24_sdwa v61, v61, s15 dst_sel:DWORD dst_unused:UNUSED_PAD src0_sel:WORD_1 src1_sel:DWORD
	v_pk_fma_f16 v70, v53, v69, v1
	v_pk_fma_f16 v53, v53, v61, v2
	v_pk_fma_f16 v71, v54, v69, v3
	v_pk_fma_f16 v54, v54, v61, v4
	v_pk_fma_f16 v72, v55, v69, v41
	v_pk_fma_f16 v55, v55, v61, v42
	v_pk_fma_f16 v73, v56, v69, v43
	v_pk_fma_f16 v56, v56, v61, v44
	ds_read2_b64 v[1:4], v30 offset0:128 offset1:160
	ds_read2_b64 v[41:44], v30 offset0:192 offset1:224
	v_pk_fma_f16 v45, v57, v69, v45
	v_pk_fma_f16 v46, v57, v61, v46
	;; [unrolled: 1-line block ×8, first 2 shown]
	v_mul_u32_u24_sdwa v57, v62, s15 dst_sel:DWORD dst_unused:UNUSED_PAD src0_sel:WORD_0 src1_sel:DWORD
	v_mul_u32_u24_sdwa v58, v62, s15 dst_sel:DWORD dst_unused:UNUSED_PAD src0_sel:WORD_1 src1_sel:DWORD
	s_waitcnt lgkmcnt(1)
	v_pk_fma_f16 v59, v1, v57, v70
	v_pk_fma_f16 v53, v1, v58, v53
	;; [unrolled: 1-line block ×8, first 2 shown]
	s_waitcnt lgkmcnt(0)
	v_pk_fma_f16 v45, v41, v57, v45
	v_pk_fma_f16 v46, v41, v58, v46
	;; [unrolled: 1-line block ×8, first 2 shown]
	ds_read2_b64 v[1:4], v37 offset1:32
	ds_read2_b64 v[41:44], v37 offset0:64 offset1:96
	v_mul_u32_u24_sdwa v57, v63, s15 dst_sel:DWORD dst_unused:UNUSED_PAD src0_sel:WORD_0 src1_sel:DWORD
	v_mul_u32_u24_sdwa v58, v63, s15 dst_sel:DWORD dst_unused:UNUSED_PAD src0_sel:WORD_1 src1_sel:DWORD
	s_waitcnt lgkmcnt(1)
	v_pk_fma_f16 v59, v1, v57, v59
	v_pk_fma_f16 v53, v1, v58, v53
	;; [unrolled: 1-line block ×8, first 2 shown]
	s_waitcnt lgkmcnt(0)
	v_pk_fma_f16 v45, v41, v57, v45
	v_pk_fma_f16 v46, v41, v58, v46
	;; [unrolled: 1-line block ×8, first 2 shown]
	ds_read2_b64 v[1:4], v37 offset0:128 offset1:160
	ds_read2_b64 v[41:44], v37 offset0:192 offset1:224
	v_mul_u32_u24_sdwa v57, v64, s15 dst_sel:DWORD dst_unused:UNUSED_PAD src0_sel:WORD_0 src1_sel:DWORD
	v_mul_u32_u24_sdwa v58, v64, s15 dst_sel:DWORD dst_unused:UNUSED_PAD src0_sel:WORD_1 src1_sel:DWORD
	s_waitcnt lgkmcnt(1)
	v_pk_fma_f16 v59, v1, v57, v59
	v_pk_fma_f16 v53, v1, v58, v53
	v_pk_fma_f16 v60, v2, v57, v60
	v_pk_fma_f16 v54, v2, v58, v54
	v_pk_fma_f16 v61, v3, v57, v61
	v_pk_fma_f16 v55, v3, v58, v55
	v_pk_fma_f16 v62, v4, v57, v62
	v_pk_fma_f16 v56, v4, v58, v56
	s_waitcnt lgkmcnt(0)
	v_pk_fma_f16 v45, v41, v57, v45
	v_pk_fma_f16 v46, v41, v58, v46
	;; [unrolled: 1-line block ×8, first 2 shown]
	ds_read2_b64 v[1:4], v38 offset1:32
	ds_read2_b64 v[41:44], v38 offset0:64 offset1:96
	v_mul_u32_u24_sdwa v57, v65, s15 dst_sel:DWORD dst_unused:UNUSED_PAD src0_sel:WORD_0 src1_sel:DWORD
	v_mul_u32_u24_sdwa v58, v65, s15 dst_sel:DWORD dst_unused:UNUSED_PAD src0_sel:WORD_1 src1_sel:DWORD
	v_mul_u32_u24_sdwa v65, v68, s15 dst_sel:DWORD dst_unused:UNUSED_PAD src0_sel:WORD_0 src1_sel:DWORD
	s_waitcnt lgkmcnt(1)
	v_pk_fma_f16 v59, v1, v57, v59
	v_pk_fma_f16 v53, v1, v58, v53
	;; [unrolled: 1-line block ×8, first 2 shown]
	s_waitcnt lgkmcnt(0)
	v_pk_fma_f16 v45, v41, v57, v45
	v_pk_fma_f16 v46, v41, v58, v46
	;; [unrolled: 1-line block ×8, first 2 shown]
	ds_read2_b64 v[1:4], v38 offset0:128 offset1:160
	ds_read2_b64 v[41:44], v38 offset0:192 offset1:224
	v_mul_u32_u24_sdwa v57, v66, s15 dst_sel:DWORD dst_unused:UNUSED_PAD src0_sel:WORD_0 src1_sel:DWORD
	v_mul_u32_u24_sdwa v58, v66, s15 dst_sel:DWORD dst_unused:UNUSED_PAD src0_sel:WORD_1 src1_sel:DWORD
	v_mul_u32_u24_sdwa v66, v68, s15 dst_sel:DWORD dst_unused:UNUSED_PAD src0_sel:WORD_1 src1_sel:DWORD
	s_waitcnt lgkmcnt(1)
	v_pk_fma_f16 v59, v1, v57, v59
	v_pk_fma_f16 v53, v1, v58, v53
	;; [unrolled: 1-line block ×8, first 2 shown]
	s_waitcnt lgkmcnt(0)
	v_pk_fma_f16 v45, v41, v57, v45
	v_pk_fma_f16 v46, v41, v58, v46
	;; [unrolled: 1-line block ×8, first 2 shown]
	ds_read2_b64 v[1:4], v39 offset1:32
	ds_read2_b64 v[41:44], v39 offset0:64 offset1:96
	v_mul_u32_u24_sdwa v57, v67, s15 dst_sel:DWORD dst_unused:UNUSED_PAD src0_sel:WORD_0 src1_sel:DWORD
	v_mul_u32_u24_sdwa v58, v67, s15 dst_sel:DWORD dst_unused:UNUSED_PAD src0_sel:WORD_1 src1_sel:DWORD
	s_waitcnt lgkmcnt(1)
	v_pk_fma_f16 v59, v1, v57, v59
	v_pk_fma_f16 v53, v1, v58, v53
	;; [unrolled: 1-line block ×8, first 2 shown]
	s_waitcnt lgkmcnt(0)
	v_pk_fma_f16 v45, v41, v57, v45
	v_pk_fma_f16 v46, v41, v58, v46
	;; [unrolled: 1-line block ×8, first 2 shown]
	ds_read2_b64 v[41:44], v39 offset0:128 offset1:160
	ds_read2_b64 v[49:52], v39 offset0:192 offset1:224
	s_waitcnt lgkmcnt(0)
	s_barrier
	v_pk_fma_f16 v2, v41, v66, v53
	v_pk_fma_f16 v45, v49, v65, v45
	;; [unrolled: 1-line block ×8, first 2 shown]
	v_add_co_u32_e32 v57, vcc, s18, v31
	v_mov_b32_e32 v53, s19
	v_pk_fma_f16 v52, v52, v66, v58
	v_addc_co_u32_e32 v58, vcc, v32, v53, vcc
	v_pk_fma_f16 v1, v41, v65, v59
	v_pk_fma_f16 v3, v42, v65, v60
	v_pk_fma_f16 v4, v42, v66, v54
	v_pk_fma_f16 v41, v43, v65, v61
	v_pk_fma_f16 v42, v43, v66, v55
	v_pk_fma_f16 v43, v44, v65, v62
	v_pk_fma_f16 v44, v44, v66, v56
	global_load_dwordx4 v[53:56], v[57:58], off
	s_or_b32 s18, s6, 40
	s_mul_hi_i32 s19, s18, s8
	s_mul_i32 s18, s18, s8
	s_lshl_b64 s[18:19], s[18:19], 2
	s_waitcnt vmcnt(0)
	ds_write_b128 v28, v[53:56]
	global_load_dwordx4 v[53:56], v[57:58], off offset:512
	s_waitcnt vmcnt(0)
	ds_write_b128 v29, v[53:56]
	s_waitcnt lgkmcnt(0)
	s_barrier
	ds_read2_b64 v[53:56], v30 offset1:32
	ds_read2_b64 v[57:60], v30 offset0:64 offset1:96
	ds_read_b128 v[61:64], v27 offset:128
	ds_read_b128 v[65:68], v27 offset:144
	s_waitcnt lgkmcnt(1)
	v_mul_u32_u24_sdwa v69, v61, s15 dst_sel:DWORD dst_unused:UNUSED_PAD src0_sel:WORD_0 src1_sel:DWORD
	v_mul_u32_u24_sdwa v61, v61, s15 dst_sel:DWORD dst_unused:UNUSED_PAD src0_sel:WORD_1 src1_sel:DWORD
	v_pk_fma_f16 v70, v53, v69, v1
	v_pk_fma_f16 v53, v53, v61, v2
	;; [unrolled: 1-line block ×8, first 2 shown]
	ds_read2_b64 v[1:4], v30 offset0:128 offset1:160
	ds_read2_b64 v[41:44], v30 offset0:192 offset1:224
	v_pk_fma_f16 v45, v57, v69, v45
	v_pk_fma_f16 v46, v57, v61, v46
	;; [unrolled: 1-line block ×8, first 2 shown]
	v_mul_u32_u24_sdwa v57, v62, s15 dst_sel:DWORD dst_unused:UNUSED_PAD src0_sel:WORD_0 src1_sel:DWORD
	v_mul_u32_u24_sdwa v58, v62, s15 dst_sel:DWORD dst_unused:UNUSED_PAD src0_sel:WORD_1 src1_sel:DWORD
	s_waitcnt lgkmcnt(1)
	v_pk_fma_f16 v59, v1, v57, v70
	v_pk_fma_f16 v53, v1, v58, v53
	;; [unrolled: 1-line block ×8, first 2 shown]
	s_waitcnt lgkmcnt(0)
	v_pk_fma_f16 v45, v41, v57, v45
	v_pk_fma_f16 v46, v41, v58, v46
	;; [unrolled: 1-line block ×8, first 2 shown]
	ds_read2_b64 v[1:4], v37 offset1:32
	ds_read2_b64 v[41:44], v37 offset0:64 offset1:96
	v_mul_u32_u24_sdwa v57, v63, s15 dst_sel:DWORD dst_unused:UNUSED_PAD src0_sel:WORD_0 src1_sel:DWORD
	v_mul_u32_u24_sdwa v58, v63, s15 dst_sel:DWORD dst_unused:UNUSED_PAD src0_sel:WORD_1 src1_sel:DWORD
	s_waitcnt lgkmcnt(1)
	v_pk_fma_f16 v59, v1, v57, v59
	v_pk_fma_f16 v53, v1, v58, v53
	;; [unrolled: 1-line block ×8, first 2 shown]
	s_waitcnt lgkmcnt(0)
	v_pk_fma_f16 v45, v41, v57, v45
	v_pk_fma_f16 v46, v41, v58, v46
	;; [unrolled: 1-line block ×8, first 2 shown]
	ds_read2_b64 v[1:4], v37 offset0:128 offset1:160
	ds_read2_b64 v[41:44], v37 offset0:192 offset1:224
	v_mul_u32_u24_sdwa v57, v64, s15 dst_sel:DWORD dst_unused:UNUSED_PAD src0_sel:WORD_0 src1_sel:DWORD
	v_mul_u32_u24_sdwa v58, v64, s15 dst_sel:DWORD dst_unused:UNUSED_PAD src0_sel:WORD_1 src1_sel:DWORD
	s_waitcnt lgkmcnt(1)
	v_pk_fma_f16 v59, v1, v57, v59
	v_pk_fma_f16 v53, v1, v58, v53
	;; [unrolled: 1-line block ×8, first 2 shown]
	s_waitcnt lgkmcnt(0)
	v_pk_fma_f16 v45, v41, v57, v45
	v_pk_fma_f16 v46, v41, v58, v46
	;; [unrolled: 1-line block ×8, first 2 shown]
	ds_read2_b64 v[1:4], v38 offset1:32
	ds_read2_b64 v[41:44], v38 offset0:64 offset1:96
	v_mul_u32_u24_sdwa v57, v65, s15 dst_sel:DWORD dst_unused:UNUSED_PAD src0_sel:WORD_0 src1_sel:DWORD
	v_mul_u32_u24_sdwa v58, v65, s15 dst_sel:DWORD dst_unused:UNUSED_PAD src0_sel:WORD_1 src1_sel:DWORD
	v_mul_u32_u24_sdwa v65, v68, s15 dst_sel:DWORD dst_unused:UNUSED_PAD src0_sel:WORD_0 src1_sel:DWORD
	s_waitcnt lgkmcnt(1)
	v_pk_fma_f16 v59, v1, v57, v59
	v_pk_fma_f16 v53, v1, v58, v53
	;; [unrolled: 1-line block ×8, first 2 shown]
	s_waitcnt lgkmcnt(0)
	v_pk_fma_f16 v45, v41, v57, v45
	v_pk_fma_f16 v46, v41, v58, v46
	;; [unrolled: 1-line block ×8, first 2 shown]
	ds_read2_b64 v[1:4], v38 offset0:128 offset1:160
	ds_read2_b64 v[41:44], v38 offset0:192 offset1:224
	v_mul_u32_u24_sdwa v57, v66, s15 dst_sel:DWORD dst_unused:UNUSED_PAD src0_sel:WORD_0 src1_sel:DWORD
	v_mul_u32_u24_sdwa v58, v66, s15 dst_sel:DWORD dst_unused:UNUSED_PAD src0_sel:WORD_1 src1_sel:DWORD
	v_mul_u32_u24_sdwa v66, v68, s15 dst_sel:DWORD dst_unused:UNUSED_PAD src0_sel:WORD_1 src1_sel:DWORD
	s_waitcnt lgkmcnt(1)
	v_pk_fma_f16 v59, v1, v57, v59
	v_pk_fma_f16 v53, v1, v58, v53
	;; [unrolled: 1-line block ×8, first 2 shown]
	s_waitcnt lgkmcnt(0)
	v_pk_fma_f16 v45, v41, v57, v45
	v_pk_fma_f16 v46, v41, v58, v46
	;; [unrolled: 1-line block ×8, first 2 shown]
	ds_read2_b64 v[1:4], v39 offset1:32
	ds_read2_b64 v[41:44], v39 offset0:64 offset1:96
	v_mul_u32_u24_sdwa v57, v67, s15 dst_sel:DWORD dst_unused:UNUSED_PAD src0_sel:WORD_0 src1_sel:DWORD
	v_mul_u32_u24_sdwa v58, v67, s15 dst_sel:DWORD dst_unused:UNUSED_PAD src0_sel:WORD_1 src1_sel:DWORD
	s_waitcnt lgkmcnt(1)
	v_pk_fma_f16 v59, v1, v57, v59
	v_pk_fma_f16 v53, v1, v58, v53
	;; [unrolled: 1-line block ×8, first 2 shown]
	s_waitcnt lgkmcnt(0)
	v_pk_fma_f16 v45, v41, v57, v45
	v_pk_fma_f16 v46, v41, v58, v46
	;; [unrolled: 1-line block ×8, first 2 shown]
	ds_read2_b64 v[41:44], v39 offset0:128 offset1:160
	ds_read2_b64 v[49:52], v39 offset0:192 offset1:224
	s_waitcnt lgkmcnt(0)
	s_barrier
	v_pk_fma_f16 v2, v41, v66, v53
	v_pk_fma_f16 v45, v49, v65, v45
	;; [unrolled: 1-line block ×8, first 2 shown]
	v_add_co_u32_e32 v57, vcc, s18, v31
	v_mov_b32_e32 v53, s19
	v_pk_fma_f16 v52, v52, v66, v58
	v_addc_co_u32_e32 v58, vcc, v32, v53, vcc
	v_pk_fma_f16 v1, v41, v65, v59
	v_pk_fma_f16 v3, v42, v65, v60
	;; [unrolled: 1-line block ×7, first 2 shown]
	global_load_dwordx4 v[53:56], v[57:58], off
	s_or_b32 s18, s6, 48
	s_mul_hi_i32 s19, s18, s8
	s_mul_i32 s18, s18, s8
	s_lshl_b64 s[18:19], s[18:19], 2
	s_waitcnt vmcnt(0)
	ds_write_b128 v28, v[53:56]
	global_load_dwordx4 v[53:56], v[57:58], off offset:512
	s_waitcnt vmcnt(0)
	ds_write_b128 v29, v[53:56]
	s_waitcnt lgkmcnt(0)
	s_barrier
	ds_read2_b64 v[53:56], v30 offset1:32
	ds_read2_b64 v[57:60], v30 offset0:64 offset1:96
	ds_read_b128 v[61:64], v27 offset:160
	ds_read_b128 v[65:68], v27 offset:176
	s_waitcnt lgkmcnt(1)
	v_mul_u32_u24_sdwa v69, v61, s15 dst_sel:DWORD dst_unused:UNUSED_PAD src0_sel:WORD_0 src1_sel:DWORD
	v_mul_u32_u24_sdwa v61, v61, s15 dst_sel:DWORD dst_unused:UNUSED_PAD src0_sel:WORD_1 src1_sel:DWORD
	v_pk_fma_f16 v70, v53, v69, v1
	v_pk_fma_f16 v53, v53, v61, v2
	;; [unrolled: 1-line block ×8, first 2 shown]
	ds_read2_b64 v[1:4], v30 offset0:128 offset1:160
	ds_read2_b64 v[41:44], v30 offset0:192 offset1:224
	v_pk_fma_f16 v45, v57, v69, v45
	v_pk_fma_f16 v46, v57, v61, v46
	;; [unrolled: 1-line block ×8, first 2 shown]
	v_mul_u32_u24_sdwa v57, v62, s15 dst_sel:DWORD dst_unused:UNUSED_PAD src0_sel:WORD_0 src1_sel:DWORD
	v_mul_u32_u24_sdwa v58, v62, s15 dst_sel:DWORD dst_unused:UNUSED_PAD src0_sel:WORD_1 src1_sel:DWORD
	s_waitcnt lgkmcnt(1)
	v_pk_fma_f16 v59, v1, v57, v70
	v_pk_fma_f16 v53, v1, v58, v53
	;; [unrolled: 1-line block ×8, first 2 shown]
	s_waitcnt lgkmcnt(0)
	v_pk_fma_f16 v45, v41, v57, v45
	v_pk_fma_f16 v46, v41, v58, v46
	;; [unrolled: 1-line block ×8, first 2 shown]
	ds_read2_b64 v[1:4], v37 offset1:32
	ds_read2_b64 v[41:44], v37 offset0:64 offset1:96
	v_mul_u32_u24_sdwa v57, v63, s15 dst_sel:DWORD dst_unused:UNUSED_PAD src0_sel:WORD_0 src1_sel:DWORD
	v_mul_u32_u24_sdwa v58, v63, s15 dst_sel:DWORD dst_unused:UNUSED_PAD src0_sel:WORD_1 src1_sel:DWORD
	s_waitcnt lgkmcnt(1)
	v_pk_fma_f16 v59, v1, v57, v59
	v_pk_fma_f16 v53, v1, v58, v53
	v_pk_fma_f16 v60, v2, v57, v60
	v_pk_fma_f16 v54, v2, v58, v54
	v_pk_fma_f16 v61, v3, v57, v61
	v_pk_fma_f16 v55, v3, v58, v55
	v_pk_fma_f16 v62, v4, v57, v62
	v_pk_fma_f16 v56, v4, v58, v56
	s_waitcnt lgkmcnt(0)
	v_pk_fma_f16 v45, v41, v57, v45
	v_pk_fma_f16 v46, v41, v58, v46
	;; [unrolled: 1-line block ×8, first 2 shown]
	ds_read2_b64 v[1:4], v37 offset0:128 offset1:160
	ds_read2_b64 v[41:44], v37 offset0:192 offset1:224
	v_mul_u32_u24_sdwa v57, v64, s15 dst_sel:DWORD dst_unused:UNUSED_PAD src0_sel:WORD_0 src1_sel:DWORD
	v_mul_u32_u24_sdwa v58, v64, s15 dst_sel:DWORD dst_unused:UNUSED_PAD src0_sel:WORD_1 src1_sel:DWORD
	s_waitcnt lgkmcnt(1)
	v_pk_fma_f16 v59, v1, v57, v59
	v_pk_fma_f16 v53, v1, v58, v53
	;; [unrolled: 1-line block ×8, first 2 shown]
	s_waitcnt lgkmcnt(0)
	v_pk_fma_f16 v45, v41, v57, v45
	v_pk_fma_f16 v46, v41, v58, v46
	;; [unrolled: 1-line block ×8, first 2 shown]
	ds_read2_b64 v[1:4], v38 offset1:32
	ds_read2_b64 v[41:44], v38 offset0:64 offset1:96
	v_mul_u32_u24_sdwa v57, v65, s15 dst_sel:DWORD dst_unused:UNUSED_PAD src0_sel:WORD_0 src1_sel:DWORD
	v_mul_u32_u24_sdwa v58, v65, s15 dst_sel:DWORD dst_unused:UNUSED_PAD src0_sel:WORD_1 src1_sel:DWORD
	v_mul_u32_u24_sdwa v65, v68, s15 dst_sel:DWORD dst_unused:UNUSED_PAD src0_sel:WORD_0 src1_sel:DWORD
	s_waitcnt lgkmcnt(1)
	v_pk_fma_f16 v59, v1, v57, v59
	v_pk_fma_f16 v53, v1, v58, v53
	;; [unrolled: 1-line block ×8, first 2 shown]
	s_waitcnt lgkmcnt(0)
	v_pk_fma_f16 v45, v41, v57, v45
	v_pk_fma_f16 v46, v41, v58, v46
	;; [unrolled: 1-line block ×8, first 2 shown]
	ds_read2_b64 v[1:4], v38 offset0:128 offset1:160
	ds_read2_b64 v[41:44], v38 offset0:192 offset1:224
	v_mul_u32_u24_sdwa v57, v66, s15 dst_sel:DWORD dst_unused:UNUSED_PAD src0_sel:WORD_0 src1_sel:DWORD
	v_mul_u32_u24_sdwa v58, v66, s15 dst_sel:DWORD dst_unused:UNUSED_PAD src0_sel:WORD_1 src1_sel:DWORD
	v_mul_u32_u24_sdwa v66, v68, s15 dst_sel:DWORD dst_unused:UNUSED_PAD src0_sel:WORD_1 src1_sel:DWORD
	s_waitcnt lgkmcnt(1)
	v_pk_fma_f16 v59, v1, v57, v59
	v_pk_fma_f16 v53, v1, v58, v53
	;; [unrolled: 1-line block ×8, first 2 shown]
	s_waitcnt lgkmcnt(0)
	v_pk_fma_f16 v45, v41, v57, v45
	v_pk_fma_f16 v46, v41, v58, v46
	;; [unrolled: 1-line block ×8, first 2 shown]
	ds_read2_b64 v[1:4], v39 offset1:32
	ds_read2_b64 v[41:44], v39 offset0:64 offset1:96
	v_mul_u32_u24_sdwa v57, v67, s15 dst_sel:DWORD dst_unused:UNUSED_PAD src0_sel:WORD_0 src1_sel:DWORD
	v_mul_u32_u24_sdwa v58, v67, s15 dst_sel:DWORD dst_unused:UNUSED_PAD src0_sel:WORD_1 src1_sel:DWORD
	s_waitcnt lgkmcnt(1)
	v_pk_fma_f16 v59, v1, v57, v59
	v_pk_fma_f16 v53, v1, v58, v53
	;; [unrolled: 1-line block ×8, first 2 shown]
	s_waitcnt lgkmcnt(0)
	v_pk_fma_f16 v45, v41, v57, v45
	v_pk_fma_f16 v46, v41, v58, v46
	;; [unrolled: 1-line block ×8, first 2 shown]
	ds_read2_b64 v[41:44], v39 offset0:128 offset1:160
	ds_read2_b64 v[49:52], v39 offset0:192 offset1:224
	s_waitcnt lgkmcnt(0)
	s_barrier
	v_pk_fma_f16 v2, v41, v66, v53
	v_pk_fma_f16 v45, v49, v65, v45
	;; [unrolled: 1-line block ×8, first 2 shown]
	v_add_co_u32_e32 v57, vcc, s18, v31
	v_mov_b32_e32 v53, s19
	v_pk_fma_f16 v52, v52, v66, v58
	v_addc_co_u32_e32 v58, vcc, v32, v53, vcc
	v_pk_fma_f16 v1, v41, v65, v59
	v_pk_fma_f16 v3, v42, v65, v60
	;; [unrolled: 1-line block ×7, first 2 shown]
	global_load_dwordx4 v[53:56], v[57:58], off
	s_or_b32 s18, s6, 56
	s_mul_hi_i32 s19, s18, s8
	s_mul_i32 s18, s18, s8
	s_lshl_b64 s[18:19], s[18:19], 2
	s_waitcnt vmcnt(0)
	ds_write_b128 v28, v[53:56]
	global_load_dwordx4 v[53:56], v[57:58], off offset:512
	s_waitcnt vmcnt(0)
	ds_write_b128 v29, v[53:56]
	s_waitcnt lgkmcnt(0)
	s_barrier
	ds_read2_b64 v[53:56], v30 offset1:32
	ds_read2_b64 v[57:60], v30 offset0:64 offset1:96
	ds_read_b128 v[61:64], v27 offset:192
	ds_read_b128 v[65:68], v27 offset:208
	s_waitcnt lgkmcnt(1)
	v_mul_u32_u24_sdwa v69, v61, s15 dst_sel:DWORD dst_unused:UNUSED_PAD src0_sel:WORD_0 src1_sel:DWORD
	v_mul_u32_u24_sdwa v61, v61, s15 dst_sel:DWORD dst_unused:UNUSED_PAD src0_sel:WORD_1 src1_sel:DWORD
	v_pk_fma_f16 v70, v53, v69, v1
	v_pk_fma_f16 v53, v53, v61, v2
	;; [unrolled: 1-line block ×8, first 2 shown]
	ds_read2_b64 v[1:4], v30 offset0:128 offset1:160
	ds_read2_b64 v[41:44], v30 offset0:192 offset1:224
	v_pk_fma_f16 v45, v57, v69, v45
	v_pk_fma_f16 v46, v57, v61, v46
	v_pk_fma_f16 v47, v58, v69, v47
	v_pk_fma_f16 v48, v58, v61, v48
	v_pk_fma_f16 v49, v59, v69, v49
	v_pk_fma_f16 v50, v59, v61, v50
	v_pk_fma_f16 v51, v60, v69, v51
	v_pk_fma_f16 v52, v60, v61, v52
	v_mul_u32_u24_sdwa v57, v62, s15 dst_sel:DWORD dst_unused:UNUSED_PAD src0_sel:WORD_0 src1_sel:DWORD
	v_mul_u32_u24_sdwa v58, v62, s15 dst_sel:DWORD dst_unused:UNUSED_PAD src0_sel:WORD_1 src1_sel:DWORD
	s_waitcnt lgkmcnt(1)
	v_pk_fma_f16 v59, v1, v57, v70
	v_pk_fma_f16 v53, v1, v58, v53
	;; [unrolled: 1-line block ×8, first 2 shown]
	s_waitcnt lgkmcnt(0)
	v_pk_fma_f16 v45, v41, v57, v45
	v_pk_fma_f16 v46, v41, v58, v46
	v_pk_fma_f16 v47, v42, v57, v47
	v_pk_fma_f16 v48, v42, v58, v48
	v_pk_fma_f16 v49, v43, v57, v49
	v_pk_fma_f16 v50, v43, v58, v50
	v_pk_fma_f16 v51, v44, v57, v51
	v_pk_fma_f16 v52, v44, v58, v52
	ds_read2_b64 v[1:4], v37 offset1:32
	ds_read2_b64 v[41:44], v37 offset0:64 offset1:96
	v_mul_u32_u24_sdwa v57, v63, s15 dst_sel:DWORD dst_unused:UNUSED_PAD src0_sel:WORD_0 src1_sel:DWORD
	v_mul_u32_u24_sdwa v58, v63, s15 dst_sel:DWORD dst_unused:UNUSED_PAD src0_sel:WORD_1 src1_sel:DWORD
	v_mul_u32_u24_sdwa v74, v68, s15 dst_sel:DWORD dst_unused:UNUSED_PAD src0_sel:WORD_0 src1_sel:DWORD
	s_waitcnt lgkmcnt(1)
	v_pk_fma_f16 v59, v1, v57, v59
	v_pk_fma_f16 v53, v1, v58, v53
	;; [unrolled: 1-line block ×8, first 2 shown]
	s_waitcnt lgkmcnt(0)
	v_pk_fma_f16 v45, v41, v57, v45
	v_pk_fma_f16 v46, v41, v58, v46
	;; [unrolled: 1-line block ×8, first 2 shown]
	ds_read2_b64 v[1:4], v37 offset0:128 offset1:160
	ds_read2_b64 v[41:44], v37 offset0:192 offset1:224
	v_mul_u32_u24_sdwa v57, v64, s15 dst_sel:DWORD dst_unused:UNUSED_PAD src0_sel:WORD_0 src1_sel:DWORD
	v_mul_u32_u24_sdwa v58, v64, s15 dst_sel:DWORD dst_unused:UNUSED_PAD src0_sel:WORD_1 src1_sel:DWORD
	v_mul_u32_u24_sdwa v68, v68, s15 dst_sel:DWORD dst_unused:UNUSED_PAD src0_sel:WORD_1 src1_sel:DWORD
	s_waitcnt lgkmcnt(1)
	v_pk_fma_f16 v59, v1, v57, v59
	v_pk_fma_f16 v53, v1, v58, v53
	;; [unrolled: 1-line block ×8, first 2 shown]
	s_waitcnt lgkmcnt(0)
	v_pk_fma_f16 v45, v41, v57, v45
	v_pk_fma_f16 v46, v41, v58, v46
	;; [unrolled: 1-line block ×8, first 2 shown]
	ds_read2_b64 v[1:4], v38 offset1:32
	ds_read2_b64 v[41:44], v38 offset0:64 offset1:96
	v_mul_u32_u24_sdwa v57, v65, s15 dst_sel:DWORD dst_unused:UNUSED_PAD src0_sel:WORD_0 src1_sel:DWORD
	v_mul_u32_u24_sdwa v58, v65, s15 dst_sel:DWORD dst_unused:UNUSED_PAD src0_sel:WORD_1 src1_sel:DWORD
	s_waitcnt lgkmcnt(1)
	v_pk_fma_f16 v59, v1, v57, v59
	v_pk_fma_f16 v53, v1, v58, v53
	;; [unrolled: 1-line block ×8, first 2 shown]
	s_waitcnt lgkmcnt(0)
	v_pk_fma_f16 v45, v41, v57, v45
	v_pk_fma_f16 v46, v41, v58, v46
	;; [unrolled: 1-line block ×8, first 2 shown]
	ds_read2_b64 v[1:4], v38 offset0:128 offset1:160
	ds_read2_b64 v[41:44], v38 offset0:192 offset1:224
	v_mul_u32_u24_sdwa v57, v66, s15 dst_sel:DWORD dst_unused:UNUSED_PAD src0_sel:WORD_0 src1_sel:DWORD
	v_mul_u32_u24_sdwa v58, v66, s15 dst_sel:DWORD dst_unused:UNUSED_PAD src0_sel:WORD_1 src1_sel:DWORD
	s_waitcnt lgkmcnt(1)
	v_pk_fma_f16 v59, v1, v57, v59
	v_pk_fma_f16 v53, v1, v58, v53
	;; [unrolled: 1-line block ×8, first 2 shown]
	s_waitcnt lgkmcnt(0)
	v_pk_fma_f16 v45, v41, v57, v45
	v_pk_fma_f16 v46, v41, v58, v46
	;; [unrolled: 1-line block ×8, first 2 shown]
	ds_read2_b64 v[1:4], v39 offset1:32
	ds_read2_b64 v[41:44], v39 offset0:64 offset1:96
	v_mul_u32_u24_sdwa v57, v67, s15 dst_sel:DWORD dst_unused:UNUSED_PAD src0_sel:WORD_0 src1_sel:DWORD
	v_mul_u32_u24_sdwa v58, v67, s15 dst_sel:DWORD dst_unused:UNUSED_PAD src0_sel:WORD_1 src1_sel:DWORD
	s_waitcnt lgkmcnt(1)
	v_pk_fma_f16 v59, v1, v57, v59
	v_pk_fma_f16 v63, v1, v58, v53
	;; [unrolled: 1-line block ×8, first 2 shown]
	ds_read2_b64 v[1:4], v39 offset0:128 offset1:160
	ds_read2_b64 v[53:56], v39 offset0:192 offset1:224
	s_waitcnt lgkmcnt(2)
	v_pk_fma_f16 v67, v41, v57, v45
	v_pk_fma_f16 v69, v41, v58, v46
	;; [unrolled: 1-line block ×8, first 2 shown]
	s_waitcnt lgkmcnt(1)
	v_pk_fma_f16 v41, v1, v74, v59
	v_pk_fma_f16 v42, v1, v68, v63
	;; [unrolled: 1-line block ×4, first 2 shown]
	v_add_co_u32_e32 v1, vcc, s18, v31
	v_mov_b32_e32 v2, s19
	v_addc_co_u32_e32 v2, vcc, v32, v2, vcc
	v_pk_fma_f16 v45, v3, v74, v61
	v_pk_fma_f16 v46, v3, v68, v65
	;; [unrolled: 1-line block ×4, first 2 shown]
	s_waitcnt lgkmcnt(0)
	v_pk_fma_f16 v49, v53, v74, v67
	v_pk_fma_f16 v50, v53, v68, v69
	v_pk_fma_f16 v51, v54, v74, v70
	v_pk_fma_f16 v52, v54, v68, v71
	v_pk_fma_f16 v53, v55, v74, v72
	v_pk_fma_f16 v54, v55, v68, v73
	v_pk_fma_f16 v55, v56, v74, v57
	v_pk_fma_f16 v56, v56, v68, v58
	s_barrier
	global_load_dwordx4 v[57:60], v[1:2], off
	s_waitcnt vmcnt(0)
	ds_write_b128 v28, v[57:60]
	global_load_dwordx4 v[1:4], v[1:2], off offset:512
	s_waitcnt vmcnt(0)
	ds_write_b128 v29, v[1:4]
	s_waitcnt lgkmcnt(0)
	s_barrier
	ds_read2_b64 v[57:60], v30 offset1:32
	ds_read2_b64 v[61:64], v30 offset0:64 offset1:96
	ds_read_b128 v[65:68], v27 offset:224
	ds_read_b128 v[1:4], v27 offset:240
	s_waitcnt lgkmcnt(1)
	v_mul_u32_u24_sdwa v69, v65, s15 dst_sel:DWORD dst_unused:UNUSED_PAD src0_sel:WORD_0 src1_sel:DWORD
	v_mul_u32_u24_sdwa v65, v65, s15 dst_sel:DWORD dst_unused:UNUSED_PAD src0_sel:WORD_1 src1_sel:DWORD
	v_pk_fma_f16 v70, v57, v69, v41
	v_pk_fma_f16 v57, v57, v65, v42
	;; [unrolled: 1-line block ×8, first 2 shown]
	ds_read2_b64 v[41:44], v30 offset0:128 offset1:160
	ds_read2_b64 v[45:48], v30 offset0:192 offset1:224
	v_pk_fma_f16 v49, v61, v69, v49
	v_pk_fma_f16 v50, v61, v65, v50
	;; [unrolled: 1-line block ×8, first 2 shown]
	v_mul_u32_u24_sdwa v61, v66, s15 dst_sel:DWORD dst_unused:UNUSED_PAD src0_sel:WORD_0 src1_sel:DWORD
	v_mul_u32_u24_sdwa v62, v66, s15 dst_sel:DWORD dst_unused:UNUSED_PAD src0_sel:WORD_1 src1_sel:DWORD
	s_waitcnt lgkmcnt(1)
	v_pk_fma_f16 v63, v41, v61, v70
	v_pk_fma_f16 v57, v41, v62, v57
	;; [unrolled: 1-line block ×8, first 2 shown]
	s_waitcnt lgkmcnt(0)
	v_pk_fma_f16 v49, v45, v61, v49
	v_pk_fma_f16 v50, v45, v62, v50
	;; [unrolled: 1-line block ×8, first 2 shown]
	ds_read2_b64 v[41:44], v37 offset1:32
	ds_read2_b64 v[45:48], v37 offset0:64 offset1:96
	v_mul_u32_u24_sdwa v61, v67, s15 dst_sel:DWORD dst_unused:UNUSED_PAD src0_sel:WORD_0 src1_sel:DWORD
	v_mul_u32_u24_sdwa v62, v67, s15 dst_sel:DWORD dst_unused:UNUSED_PAD src0_sel:WORD_1 src1_sel:DWORD
	s_waitcnt lgkmcnt(1)
	v_pk_fma_f16 v63, v41, v61, v63
	v_pk_fma_f16 v57, v41, v62, v57
	;; [unrolled: 1-line block ×8, first 2 shown]
	s_waitcnt lgkmcnt(0)
	v_pk_fma_f16 v49, v45, v61, v49
	v_pk_fma_f16 v50, v45, v62, v50
	;; [unrolled: 1-line block ×8, first 2 shown]
	ds_read2_b64 v[41:44], v37 offset0:128 offset1:160
	ds_read2_b64 v[45:48], v37 offset0:192 offset1:224
	v_mul_u32_u24_sdwa v61, v68, s15 dst_sel:DWORD dst_unused:UNUSED_PAD src0_sel:WORD_0 src1_sel:DWORD
	v_mul_u32_u24_sdwa v62, v68, s15 dst_sel:DWORD dst_unused:UNUSED_PAD src0_sel:WORD_1 src1_sel:DWORD
	s_waitcnt lgkmcnt(1)
	v_pk_fma_f16 v63, v41, v61, v63
	v_pk_fma_f16 v57, v41, v62, v57
	;; [unrolled: 1-line block ×8, first 2 shown]
	s_waitcnt lgkmcnt(0)
	v_pk_fma_f16 v49, v45, v61, v49
	v_pk_fma_f16 v50, v45, v62, v50
	;; [unrolled: 1-line block ×8, first 2 shown]
	ds_read2_b64 v[41:44], v38 offset1:32
	ds_read2_b64 v[45:48], v38 offset0:64 offset1:96
	v_mul_u32_u24_sdwa v61, v1, s15 dst_sel:DWORD dst_unused:UNUSED_PAD src0_sel:WORD_0 src1_sel:DWORD
	v_mul_u32_u24_sdwa v1, v1, s15 dst_sel:DWORD dst_unused:UNUSED_PAD src0_sel:WORD_1 src1_sel:DWORD
	s_waitcnt lgkmcnt(1)
	v_pk_fma_f16 v62, v41, v61, v63
	v_pk_fma_f16 v57, v41, v1, v57
	;; [unrolled: 1-line block ×8, first 2 shown]
	s_waitcnt lgkmcnt(0)
	v_pk_fma_f16 v49, v45, v61, v49
	v_pk_fma_f16 v50, v45, v1, v50
	;; [unrolled: 1-line block ×8, first 2 shown]
	ds_read2_b64 v[41:44], v38 offset0:128 offset1:160
	ds_read2_b64 v[45:48], v38 offset0:192 offset1:224
	v_mul_u32_u24_sdwa v56, v2, s15 dst_sel:DWORD dst_unused:UNUSED_PAD src0_sel:WORD_0 src1_sel:DWORD
	v_mul_u32_u24_sdwa v2, v2, s15 dst_sel:DWORD dst_unused:UNUSED_PAD src0_sel:WORD_1 src1_sel:DWORD
	s_waitcnt lgkmcnt(1)
	v_pk_fma_f16 v61, v41, v56, v62
	v_pk_fma_f16 v57, v41, v2, v57
	;; [unrolled: 1-line block ×8, first 2 shown]
	s_waitcnt lgkmcnt(0)
	v_pk_fma_f16 v49, v45, v56, v49
	v_pk_fma_f16 v50, v45, v2, v50
	;; [unrolled: 1-line block ×8, first 2 shown]
	ds_read2_b64 v[41:44], v39 offset1:32
	ds_read2_b64 v[45:48], v39 offset0:64 offset1:96
	v_mul_u32_u24_sdwa v2, v3, s15 dst_sel:DWORD dst_unused:UNUSED_PAD src0_sel:WORD_0 src1_sel:DWORD
	v_mul_u32_u24_sdwa v3, v3, s15 dst_sel:DWORD dst_unused:UNUSED_PAD src0_sel:WORD_1 src1_sel:DWORD
	s_waitcnt lgkmcnt(1)
	v_pk_fma_f16 v56, v41, v2, v61
	v_pk_fma_f16 v41, v41, v3, v57
	;; [unrolled: 1-line block ×8, first 2 shown]
	s_waitcnt lgkmcnt(0)
	v_pk_fma_f16 v67, v45, v2, v49
	v_pk_fma_f16 v50, v45, v3, v50
	ds_read2_b64 v[42:45], v39 offset0:128 offset1:160
	ds_read2_b64 v[57:60], v39 offset0:192 offset1:224
	s_waitcnt lgkmcnt(0)
	s_barrier
	s_load_dword s18, s[0:1], 0x4
	v_pk_fma_f16 v51, v46, v2, v51
	v_pk_fma_f16 v68, v46, v3, v52
	;; [unrolled: 1-line block ×4, first 2 shown]
	s_waitcnt lgkmcnt(0)
	s_lshl_b32 s18, s18, 6
	v_pk_fma_f16 v2, v48, v2, v55
	v_pk_fma_f16 v1, v48, v3, v1
	v_mul_u32_u24_sdwa v3, v4, s15 dst_sel:DWORD dst_unused:UNUSED_PAD src0_sel:WORD_0 src1_sel:DWORD
	v_mul_u32_u24_sdwa v4, v4, s15 dst_sel:DWORD dst_unused:UNUSED_PAD src0_sel:WORD_1 src1_sel:DWORD
	s_add_i32 s6, s18, s6
	v_pk_fma_f16 v49, v42, v3, v56
	v_pk_fma_f16 v42, v42, v4, v41
	;; [unrolled: 1-line block ×16, first 2 shown]
	s_cmp_ge_i32 s6, s24
	s_cbranch_scc0 .LBB5_13
.LBB5_14:
	v_cmp_lt_i32_e32 vcc, v22, v17
	v_cndmask_b32_e32 v1, v16, v22, vcc
	v_lshlrev_b32_e32 v1, 2, v1
	ds_bpermute_b32 v2, v1, v40
	ds_bpermute_b32 v1, v1, v23
	v_cmp_lt_i32_e32 vcc, v21, v17
	v_cndmask_b32_e32 v3, v16, v21, vcc
	v_lshlrev_b32_e32 v3, 2, v3
	s_waitcnt lgkmcnt(1)
	v_add_f32_e32 v2, v40, v2
	s_waitcnt lgkmcnt(0)
	v_add_f32_e32 v1, v23, v1
	ds_bpermute_b32 v4, v3, v2
	ds_bpermute_b32 v3, v3, v1
	v_cmp_lt_i32_e32 vcc, v20, v17
	v_cndmask_b32_e32 v5, v16, v20, vcc
	v_lshlrev_b32_e32 v5, 2, v5
	s_waitcnt lgkmcnt(1)
	v_add_f32_e32 v2, v2, v4
	s_waitcnt lgkmcnt(0)
	v_add_f32_e32 v1, v1, v3
	ds_bpermute_b32 v4, v5, v2
	ds_bpermute_b32 v3, v5, v1
	v_cmp_lt_i32_e32 vcc, v19, v17
	v_cndmask_b32_e32 v5, v16, v19, vcc
	v_lshlrev_b32_e32 v5, 2, v5
	s_waitcnt lgkmcnt(1)
	v_add_f32_e32 v2, v2, v4
	s_waitcnt lgkmcnt(0)
	v_add_f32_e32 v1, v1, v3
	ds_bpermute_b32 v4, v5, v2
	ds_bpermute_b32 v3, v5, v1
	v_cmp_lt_i32_e32 vcc, v18, v17
	v_cndmask_b32_e32 v5, v16, v18, vcc
	v_lshlrev_b32_e32 v5, 2, v5
	s_waitcnt lgkmcnt(1)
	v_add_f32_e32 v2, v2, v4
	s_waitcnt lgkmcnt(0)
	v_add_f32_e32 v3, v1, v3
	ds_bpermute_b32 v4, v5, v2
	ds_bpermute_b32 v5, v5, v3
	s_cmp_lg_u64 s[16:17], 0
	s_cselect_b64 s[8:9], -1, 0
	s_cmp_eq_u32 s7, 0
	s_cselect_b64 s[10:11], -1, 0
	s_and_b64 s[8:9], s[10:11], s[8:9]
	s_waitcnt lgkmcnt(1)
	v_add_f32_e32 v1, v2, v4
	s_waitcnt lgkmcnt(0)
	v_add_f32_e32 v2, v3, v5
	s_mov_b64 s[0:1], 0
	s_and_b64 vcc, exec, s[8:9]
	v_add_u32_e32 v5, s25, v14
	s_cbranch_vccnz .LBB5_17
; %bb.15:
	v_mov_b32_e32 v4, v2
	v_add_u32_e32 v6, s25, v14
	v_mov_b32_e32 v3, v1
	s_andn2_b64 vcc, exec, s[0:1]
	s_cbranch_vccz .LBB5_18
; %bb.16:
	v_mov_b32_e32 v5, v6
	s_branch .LBB5_19
.LBB5_17:
                                        ; implicit-def: $vgpr6
                                        ; implicit-def: $vgpr3_vgpr4
.LBB5_18:
	v_ashrrev_i32_e32 v6, 31, v5
	v_lshlrev_b64 v[3:4], 2, v[5:6]
	v_mov_b32_e32 v6, s17
	v_add_co_u32_e32 v3, vcc, s16, v3
	v_addc_co_u32_e32 v4, vcc, v6, v4, vcc
	global_load_dwordx2 v[3:4], v[3:4], off
	v_max_f32_e32 v6, v10, v10
	v_max_f32_e32 v7, v11, v11
	s_mov_b32 s0, 0x3fb8aa3b
	s_mov_b32 s1, 0xc2ce8ed0
	;; [unrolled: 1-line block ×3, first 2 shown]
	v_mov_b32_e32 v8, 0x7f800000
	s_waitcnt vmcnt(0)
	v_max_f32_e32 v9, v3, v3
	v_max_f32_e32 v14, v4, v4
	v_max_f32_e32 v6, v6, v9
	v_max_f32_e32 v7, v7, v14
	v_sub_f32_e32 v9, v10, v6
	v_sub_f32_e32 v14, v11, v7
	v_mov_b32_e32 v11, v7
	v_sub_f32_e32 v3, v3, v6
	v_mov_b32_e32 v10, v6
	v_mul_f32_e32 v6, 0x3fb8aa3b, v9
	v_sub_f32_e32 v4, v4, v7
	v_mul_f32_e32 v7, 0x3fb8aa3b, v3
	v_fma_f32 v17, v9, s0, -v6
	v_rndne_f32_e32 v18, v6
	v_mul_f32_e32 v15, 0x3fb8aa3b, v14
	v_fma_f32 v19, v3, s0, -v7
	v_rndne_f32_e32 v20, v7
	v_fmac_f32_e32 v17, 0x32a5705f, v9
	v_sub_f32_e32 v6, v6, v18
	v_mul_f32_e32 v16, 0x3fb8aa3b, v4
	v_fma_f32 v21, v14, s0, -v15
	v_rndne_f32_e32 v22, v15
	v_fmac_f32_e32 v19, 0x32a5705f, v3
	v_sub_f32_e32 v7, v7, v20
	v_add_f32_e32 v6, v6, v17
	v_fma_f32 v23, v4, s0, -v16
	v_rndne_f32_e32 v24, v16
	v_cvt_i32_f32_e32 v18, v18
	v_fmac_f32_e32 v21, 0x32a5705f, v14
	v_sub_f32_e32 v15, v15, v22
	v_add_f32_e32 v7, v7, v19
	v_exp_f32_e32 v6, v6
	v_cvt_i32_f32_e32 v20, v20
	v_fmac_f32_e32 v23, 0x32a5705f, v4
	v_sub_f32_e32 v16, v16, v24
	v_add_f32_e32 v15, v15, v21
	v_exp_f32_e32 v7, v7
	v_cvt_i32_f32_e32 v22, v22
	v_add_f32_e32 v16, v16, v23
	v_exp_f32_e32 v15, v15
	v_cvt_i32_f32_e32 v24, v24
	v_exp_f32_e32 v16, v16
	v_ldexp_f32 v6, v6, v18
	v_cmp_ngt_f32_e32 vcc, s1, v9
	v_ldexp_f32 v7, v7, v20
	v_cndmask_b32_e32 v6, 0, v6, vcc
	v_cmp_ngt_f32_e32 vcc, s1, v3
	v_ldexp_f32 v15, v15, v22
	v_cndmask_b32_e32 v7, 0, v7, vcc
	;; [unrolled: 3-line block ×3, first 2 shown]
	v_cmp_ngt_f32_e32 vcc, s1, v4
	v_cndmask_b32_e32 v16, 0, v16, vcc
	v_cmp_nlt_f32_e32 vcc, s6, v9
	v_cndmask_b32_e32 v6, v8, v6, vcc
	v_cmp_nlt_f32_e32 vcc, s6, v3
	;; [unrolled: 2-line block ×4, first 2 shown]
	v_cndmask_b32_e32 v4, v8, v16, vcc
	v_fmac_f32_e32 v3, v1, v6
	v_cvt_f16_f32_e32 v6, v6
	v_cvt_f16_f32_e32 v8, v7
	v_fmac_f32_e32 v4, v2, v7
	v_mov_b32_e32 v1, v3
	v_mul_u32_u24_e32 v2, 0x10001, v6
	v_mul_u32_u24_e32 v6, 0x10001, v8
	v_pk_mul_f16 v49, v49, v2
	v_pk_mul_f16 v56, v56, v2
	;; [unrolled: 1-line block ×16, first 2 shown]
	v_mov_b32_e32 v2, v4
.LBB5_19:
	s_load_dword s6, s[4:5], 0xd4
	v_mov_b32_e32 v6, 1.0
	s_waitcnt lgkmcnt(0)
	s_cmp_lg_u32 s6, 1
	s_cselect_b64 s[0:1], -1, 0
	s_cmp_eq_u32 s6, 1
	s_cselect_b64 s[4:5], -1, 0
	s_and_b64 vcc, exec, s[0:1]
	s_cbranch_vccnz .LBB5_21
; %bb.20:
	v_div_scale_f32 v6, s[8:9], v1, v1, 1.0
	v_div_scale_f32 v7, vcc, 1.0, v1, 1.0
	v_rcp_f32_e32 v8, v6
	v_fma_f32 v9, -v6, v8, 1.0
	v_fmac_f32_e32 v8, v9, v8
	v_mul_f32_e32 v9, v7, v8
	v_fma_f32 v14, -v6, v9, v7
	v_fmac_f32_e32 v9, v14, v8
	v_fma_f32 v6, -v6, v9, v7
	v_div_fmas_f32 v6, v6, v8, v9
	v_div_fixup_f32 v6, v6, v1, 1.0
.LBB5_21:
	s_mul_i32 s30, s30, s2
	v_add_u32_e32 v1, s30, v12
	v_mad_u64_u32 v[7:8], s[2:3], v1, s3, v[5:6]
	v_cmp_eq_u32_e32 vcc, 0, v0
	v_cvt_f32_f16_e32 v8, v49
	v_mul_lo_u32 v0, s6, v7
	v_cvt_f32_f16_sdwa v7, v49 dst_sel:DWORD dst_unused:UNUSED_PAD src0_sel:WORD_1
	v_cvt_f32_f16_sdwa v1, v56 dst_sel:DWORD dst_unused:UNUSED_PAD src0_sel:WORD_1
	v_cvt_f32_f16_e32 v5, v56
	v_add_u32_e32 v0, s7, v0
	v_lshl_add_u32 v18, v0, 9, v13
	v_mov_b32_e32 v19, 0
	v_mul_f32_e32 v15, v6, v7
	v_mul_f32_e32 v14, v6, v8
	v_lshlrev_b64 v[7:8], 2, v[18:19]
	s_and_b64 s[0:1], vcc, s[0:1]
	v_mul_f32_e32 v17, v6, v1
	v_mov_b32_e32 v1, s21
	v_add_co_u32_e32 v7, vcc, s20, v7
	v_mul_f32_e32 v16, v6, v5
	v_addc_co_u32_e32 v8, vcc, v1, v8, vcc
	global_store_dwordx4 v[7:8], v[14:17], off
	v_cvt_f32_f16_sdwa v7, v54 dst_sel:DWORD dst_unused:UNUSED_PAD src0_sel:WORD_1
	v_cvt_f32_f16_e32 v8, v54
	v_cvt_f32_f16_sdwa v1, v55 dst_sel:DWORD dst_unused:UNUSED_PAD src0_sel:WORD_1
	v_cvt_f32_f16_e32 v5, v55
	v_mul_f32_e32 v15, v6, v7
	v_mul_f32_e32 v14, v6, v8
	v_add_u32_e32 v7, 0x80, v18
	v_mov_b32_e32 v8, v19
	v_lshlrev_b64 v[7:8], 2, v[7:8]
	v_mul_f32_e32 v17, v6, v1
	v_mov_b32_e32 v1, s21
	v_add_co_u32_e32 v7, vcc, s20, v7
	v_mul_f32_e32 v16, v6, v5
	v_addc_co_u32_e32 v8, vcc, v1, v8, vcc
	global_store_dwordx4 v[7:8], v[14:17], off
	v_cvt_f32_f16_sdwa v7, v52 dst_sel:DWORD dst_unused:UNUSED_PAD src0_sel:WORD_1
	v_cvt_f32_f16_e32 v8, v52
	v_cvt_f32_f16_sdwa v1, v53 dst_sel:DWORD dst_unused:UNUSED_PAD src0_sel:WORD_1
	v_cvt_f32_f16_e32 v5, v53
	v_mul_f32_e32 v15, v6, v7
	v_mul_f32_e32 v14, v6, v8
	v_add_u32_e32 v7, 0x100, v18
	v_mov_b32_e32 v8, v19
	v_lshlrev_b64 v[7:8], 2, v[7:8]
	v_mul_f32_e32 v17, v6, v1
	v_mov_b32_e32 v1, s21
	v_add_co_u32_e32 v7, vcc, s20, v7
	v_mul_f32_e32 v16, v6, v5
	v_addc_co_u32_e32 v8, vcc, v1, v8, vcc
	v_cvt_f32_f16_sdwa v1, v51 dst_sel:DWORD dst_unused:UNUSED_PAD src0_sel:WORD_1
	global_store_dwordx4 v[7:8], v[14:17], off
	v_cvt_f32_f16_e32 v5, v51
	v_cvt_f32_f16_sdwa v7, v50 dst_sel:DWORD dst_unused:UNUSED_PAD src0_sel:WORD_1
	v_cvt_f32_f16_e32 v12, v50
	v_add_u32_e32 v18, 0x180, v18
	v_lshlrev_b64 v[14:15], 2, v[18:19]
	v_mul_f32_e32 v9, v6, v1
	v_mov_b32_e32 v1, s21
	v_add_co_u32_e32 v14, vcc, s20, v14
	v_mul_f32_e32 v8, v6, v5
	v_mul_f32_e32 v7, v6, v7
	;; [unrolled: 1-line block ×3, first 2 shown]
	v_addc_co_u32_e32 v15, vcc, v1, v15, vcc
	global_store_dwordx4 v[14:15], v[6:9], off
	s_and_saveexec_b64 s[2:3], s[0:1]
	s_cbranch_execz .LBB5_23
; %bb.22:
	v_ashrrev_i32_e32 v1, 31, v0
	v_lshlrev_b64 v[5:6], 3, v[0:1]
	v_mov_b32_e32 v1, s23
	v_add_co_u32_e32 v5, vcc, s22, v5
	v_addc_co_u32_e32 v6, vcc, v1, v6, vcc
	v_mov_b32_e32 v7, v10
	v_mov_b32_e32 v8, v3
	global_store_dwordx2 v[5:6], v[7:8], off
.LBB5_23:
	s_or_b64 exec, exec, s[2:3]
	s_andn2_b64 vcc, exec, s[4:5]
	v_mov_b32_e32 v1, 1.0
	s_cbranch_vccnz .LBB5_25
; %bb.24:
	v_div_scale_f32 v1, s[2:3], v2, v2, 1.0
	v_div_scale_f32 v3, vcc, 1.0, v2, 1.0
	v_rcp_f32_e32 v5, v1
	v_fma_f32 v6, -v1, v5, 1.0
	v_fmac_f32_e32 v5, v6, v5
	v_mul_f32_e32 v6, v3, v5
	v_fma_f32 v7, -v1, v6, v3
	v_fmac_f32_e32 v6, v7, v5
	v_fma_f32 v1, -v1, v6, v3
	v_div_fmas_f32 v1, v1, v5, v6
	v_div_fixup_f32 v1, v1, v2, 1.0
.LBB5_25:
	v_cvt_f32_f16_sdwa v3, v48 dst_sel:DWORD dst_unused:UNUSED_PAD src0_sel:WORD_1
	v_cvt_f32_f16_e32 v5, v48
	v_cvt_f32_f16_e32 v9, v42
	v_add_u32_e32 v0, s6, v0
	v_lshl_add_u32 v2, v0, 9, v13
	v_cvt_f32_f16_sdwa v6, v42 dst_sel:DWORD dst_unused:UNUSED_PAD src0_sel:WORD_1
	v_mul_f32_e32 v8, v1, v3
	v_mov_b32_e32 v3, 0
	v_mul_f32_e32 v7, v1, v5
	v_mul_f32_e32 v5, v1, v9
	v_lshlrev_b64 v[9:10], 2, v[2:3]
	v_mov_b32_e32 v12, s21
	v_add_co_u32_e32 v9, vcc, s20, v9
	v_mul_f32_e32 v6, v1, v6
	v_addc_co_u32_e32 v10, vcc, v12, v10, vcc
	global_store_dwordx4 v[9:10], v[5:8], off
	v_cvt_f32_f16_sdwa v9, v46 dst_sel:DWORD dst_unused:UNUSED_PAD src0_sel:WORD_1
	v_cvt_f32_f16_sdwa v5, v47 dst_sel:DWORD dst_unused:UNUSED_PAD src0_sel:WORD_1
	v_cvt_f32_f16_e32 v6, v47
	v_cvt_f32_f16_e32 v10, v46
	v_mul_f32_e32 v8, v1, v5
	v_mul_f32_e32 v7, v1, v6
	;; [unrolled: 1-line block ×4, first 2 shown]
	v_add_u32_e32 v9, 0x80, v2
	v_mov_b32_e32 v10, v3
	v_lshlrev_b64 v[9:10], 2, v[9:10]
	v_add_co_u32_e32 v9, vcc, s20, v9
	v_addc_co_u32_e32 v10, vcc, v12, v10, vcc
	global_store_dwordx4 v[9:10], v[5:8], off
	v_cvt_f32_f16_sdwa v9, v44 dst_sel:DWORD dst_unused:UNUSED_PAD src0_sel:WORD_1
	v_cvt_f32_f16_sdwa v5, v45 dst_sel:DWORD dst_unused:UNUSED_PAD src0_sel:WORD_1
	v_cvt_f32_f16_e32 v6, v45
	v_cvt_f32_f16_e32 v10, v44
	v_mul_f32_e32 v8, v1, v5
	v_mul_f32_e32 v7, v1, v6
	;; [unrolled: 1-line block ×4, first 2 shown]
	v_add_u32_e32 v9, 0x100, v2
	v_mov_b32_e32 v10, v3
	v_lshlrev_b64 v[9:10], 2, v[9:10]
	v_add_u32_e32 v2, 0x180, v2
	v_add_co_u32_e32 v9, vcc, s20, v9
	v_addc_co_u32_e32 v10, vcc, v12, v10, vcc
	global_store_dwordx4 v[9:10], v[5:8], off
	v_cvt_f32_f16_sdwa v9, v43 dst_sel:DWORD dst_unused:UNUSED_PAD src0_sel:WORD_1
	v_cvt_f32_f16_sdwa v5, v41 dst_sel:DWORD dst_unused:UNUSED_PAD src0_sel:WORD_1
	v_cvt_f32_f16_e32 v6, v41
	v_cvt_f32_f16_e32 v10, v43
	v_mul_f32_e32 v8, v1, v5
	v_mul_f32_e32 v7, v1, v6
	;; [unrolled: 1-line block ×4, first 2 shown]
	v_lshlrev_b64 v[1:2], 2, v[2:3]
	v_mov_b32_e32 v3, s21
	v_add_co_u32_e32 v1, vcc, s20, v1
	v_addc_co_u32_e32 v2, vcc, v3, v2, vcc
	global_store_dwordx4 v[1:2], v[5:8], off
	s_and_saveexec_b64 s[2:3], s[0:1]
	s_cbranch_execz .LBB5_27
; %bb.26:
	v_ashrrev_i32_e32 v1, 31, v0
	v_lshlrev_b64 v[0:1], 3, v[0:1]
	v_mov_b32_e32 v2, s23
	v_add_co_u32_e32 v0, vcc, s22, v0
	v_addc_co_u32_e32 v1, vcc, v2, v1, vcc
	v_mov_b32_e32 v3, v11
	global_store_dwordx2 v[0:1], v[3:4], off
.LBB5_27:
	s_endpgm
	.section	.rodata,"a",@progbits
	.p2align	6, 0x0
	.amdhsa_kernel _ZL15flash_attn_tileILi576ELi512ELi1ELi16ELb0EEvPKcS1_S1_S1_S1_PKiPfP15HIP_vector_typeIfLj2EEffffjfiS5_IjLj3EEiiiiiiiiiiiliiliiiiil
		.amdhsa_group_segment_fixed_size 29696
		.amdhsa_private_segment_fixed_size 0
		.amdhsa_kernarg_size 464
		.amdhsa_user_sgpr_count 6
		.amdhsa_user_sgpr_private_segment_buffer 1
		.amdhsa_user_sgpr_dispatch_ptr 0
		.amdhsa_user_sgpr_queue_ptr 0
		.amdhsa_user_sgpr_kernarg_segment_ptr 1
		.amdhsa_user_sgpr_dispatch_id 0
		.amdhsa_user_sgpr_flat_scratch_init 0
		.amdhsa_user_sgpr_private_segment_size 0
		.amdhsa_uses_dynamic_stack 0
		.amdhsa_system_sgpr_private_segment_wavefront_offset 0
		.amdhsa_system_sgpr_workgroup_id_x 1
		.amdhsa_system_sgpr_workgroup_id_y 1
		.amdhsa_system_sgpr_workgroup_id_z 1
		.amdhsa_system_sgpr_workgroup_info 0
		.amdhsa_system_vgpr_workitem_id 1
		.amdhsa_next_free_vgpr 85
		.amdhsa_next_free_sgpr 98
		.amdhsa_reserve_vcc 1
		.amdhsa_reserve_flat_scratch 0
		.amdhsa_float_round_mode_32 0
		.amdhsa_float_round_mode_16_64 0
		.amdhsa_float_denorm_mode_32 3
		.amdhsa_float_denorm_mode_16_64 3
		.amdhsa_dx10_clamp 1
		.amdhsa_ieee_mode 1
		.amdhsa_fp16_overflow 0
		.amdhsa_exception_fp_ieee_invalid_op 0
		.amdhsa_exception_fp_denorm_src 0
		.amdhsa_exception_fp_ieee_div_zero 0
		.amdhsa_exception_fp_ieee_overflow 0
		.amdhsa_exception_fp_ieee_underflow 0
		.amdhsa_exception_fp_ieee_inexact 0
		.amdhsa_exception_int_div_zero 0
	.end_amdhsa_kernel
	.section	.text._ZL15flash_attn_tileILi576ELi512ELi1ELi16ELb0EEvPKcS1_S1_S1_S1_PKiPfP15HIP_vector_typeIfLj2EEffffjfiS5_IjLj3EEiiiiiiiiiiiliiliiiiil,"axG",@progbits,_ZL15flash_attn_tileILi576ELi512ELi1ELi16ELb0EEvPKcS1_S1_S1_S1_PKiPfP15HIP_vector_typeIfLj2EEffffjfiS5_IjLj3EEiiiiiiiiiiiliiliiiiil,comdat
.Lfunc_end5:
	.size	_ZL15flash_attn_tileILi576ELi512ELi1ELi16ELb0EEvPKcS1_S1_S1_S1_PKiPfP15HIP_vector_typeIfLj2EEffffjfiS5_IjLj3EEiiiiiiiiiiiliiliiiiil, .Lfunc_end5-_ZL15flash_attn_tileILi576ELi512ELi1ELi16ELb0EEvPKcS1_S1_S1_S1_PKiPfP15HIP_vector_typeIfLj2EEffffjfiS5_IjLj3EEiiiiiiiiiiiliiliiiiil
                                        ; -- End function
	.set _ZL15flash_attn_tileILi576ELi512ELi1ELi16ELb0EEvPKcS1_S1_S1_S1_PKiPfP15HIP_vector_typeIfLj2EEffffjfiS5_IjLj3EEiiiiiiiiiiiliiliiiiil.num_vgpr, 77
	.set _ZL15flash_attn_tileILi576ELi512ELi1ELi16ELb0EEvPKcS1_S1_S1_S1_PKiPfP15HIP_vector_typeIfLj2EEffffjfiS5_IjLj3EEiiiiiiiiiiiliiliiiiil.num_agpr, 0
	.set _ZL15flash_attn_tileILi576ELi512ELi1ELi16ELb0EEvPKcS1_S1_S1_S1_PKiPfP15HIP_vector_typeIfLj2EEffffjfiS5_IjLj3EEiiiiiiiiiiiliiliiiiil.numbered_sgpr, 40
	.set _ZL15flash_attn_tileILi576ELi512ELi1ELi16ELb0EEvPKcS1_S1_S1_S1_PKiPfP15HIP_vector_typeIfLj2EEffffjfiS5_IjLj3EEiiiiiiiiiiiliiliiiiil.num_named_barrier, 0
	.set _ZL15flash_attn_tileILi576ELi512ELi1ELi16ELb0EEvPKcS1_S1_S1_S1_PKiPfP15HIP_vector_typeIfLj2EEffffjfiS5_IjLj3EEiiiiiiiiiiiliiliiiiil.private_seg_size, 0
	.set _ZL15flash_attn_tileILi576ELi512ELi1ELi16ELb0EEvPKcS1_S1_S1_S1_PKiPfP15HIP_vector_typeIfLj2EEffffjfiS5_IjLj3EEiiiiiiiiiiiliiliiiiil.uses_vcc, 1
	.set _ZL15flash_attn_tileILi576ELi512ELi1ELi16ELb0EEvPKcS1_S1_S1_S1_PKiPfP15HIP_vector_typeIfLj2EEffffjfiS5_IjLj3EEiiiiiiiiiiiliiliiiiil.uses_flat_scratch, 0
	.set _ZL15flash_attn_tileILi576ELi512ELi1ELi16ELb0EEvPKcS1_S1_S1_S1_PKiPfP15HIP_vector_typeIfLj2EEffffjfiS5_IjLj3EEiiiiiiiiiiiliiliiiiil.has_dyn_sized_stack, 0
	.set _ZL15flash_attn_tileILi576ELi512ELi1ELi16ELb0EEvPKcS1_S1_S1_S1_PKiPfP15HIP_vector_typeIfLj2EEffffjfiS5_IjLj3EEiiiiiiiiiiiliiliiiiil.has_recursion, 0
	.set _ZL15flash_attn_tileILi576ELi512ELi1ELi16ELb0EEvPKcS1_S1_S1_S1_PKiPfP15HIP_vector_typeIfLj2EEffffjfiS5_IjLj3EEiiiiiiiiiiiliiliiiiil.has_indirect_call, 0
	.section	.AMDGPU.csdata,"",@progbits
; Kernel info:
; codeLenInByte = 29556
; TotalNumSgprs: 44
; NumVgprs: 77
; ScratchSize: 0
; MemoryBound: 0
; FloatMode: 240
; IeeeMode: 1
; LDSByteSize: 29696 bytes/workgroup (compile time only)
; SGPRBlocks: 12
; VGPRBlocks: 21
; NumSGPRsForWavesPerEU: 102
; NumVGPRsForWavesPerEU: 85
; Occupancy: 2
; WaveLimiterHint : 1
; COMPUTE_PGM_RSRC2:SCRATCH_EN: 0
; COMPUTE_PGM_RSRC2:USER_SGPR: 6
; COMPUTE_PGM_RSRC2:TRAP_HANDLER: 0
; COMPUTE_PGM_RSRC2:TGID_X_EN: 1
; COMPUTE_PGM_RSRC2:TGID_Y_EN: 1
; COMPUTE_PGM_RSRC2:TGID_Z_EN: 1
; COMPUTE_PGM_RSRC2:TIDIG_COMP_CNT: 1
	.section	.text._ZL25flash_attn_mask_to_KV_maxILi1EEvPK7__half2Piiii,"axG",@progbits,_ZL25flash_attn_mask_to_KV_maxILi1EEvPK7__half2Piiii,comdat
	.globl	_ZL25flash_attn_mask_to_KV_maxILi1EEvPK7__half2Piiii ; -- Begin function _ZL25flash_attn_mask_to_KV_maxILi1EEvPK7__half2Piiii
	.p2align	8
	.type	_ZL25flash_attn_mask_to_KV_maxILi1EEvPK7__half2Piiii,@function
_ZL25flash_attn_mask_to_KV_maxILi1EEvPK7__half2Piiii: ; @_ZL25flash_attn_mask_to_KV_maxILi1EEvPK7__half2Piiii
; %bb.0:
	s_load_dwordx4 s[8:11], s[4:5], 0x0
	v_cmp_gt_u32_e32 vcc, 32, v0
	s_and_saveexec_b64 s[0:1], vcc
; %bb.1:
	v_lshlrev_b32_e32 v1, 2, v0
	v_mov_b32_e32 v2, 1
	ds_write_b32 v1, v2
; %bb.2:
	s_or_b64 exec, exec, s[0:1]
	s_load_dwordx4 s[0:3], s[4:5], 0x10
	s_load_dword s12, s[4:5], 0x20
	v_and_b32_e32 v1, 31, v0
	v_lshlrev_b32_e32 v4, 2, v1
	v_lshrrev_b32_e32 v3, 3, v0
	s_waitcnt lgkmcnt(0)
	s_mul_i32 s2, s2, s7
	s_mul_i32 s1, s1, s6
	s_add_i32 s2, s2, s1
	s_ashr_i32 s3, s2, 31
	s_lshl_b64 s[2:3], s[2:3], 2
	s_add_u32 s13, s8, s2
	s_addc_u32 s14, s9, s3
	s_lshl_b32 s15, s0, 8
	v_cmp_eq_u32_e64 s[0:1], 0, v1
	v_mbcnt_lo_u32_b32 v1, -1, 0
	v_mbcnt_hi_u32_b32 v5, -1, v1
	v_and_b32_e32 v1, 0x60, v5
	s_mov_b64 s[4:5], 0
	v_mov_b32_e32 v2, 0
	s_movk_i32 s16, 0x204
	v_add_u32_e32 v6, 32, v1
	v_xor_b32_e32 v7, 16, v5
	v_xor_b32_e32 v8, 8, v5
	;; [unrolled: 1-line block ×5, first 2 shown]
	s_barrier
                                        ; implicit-def: $sgpr2_sgpr3
	s_branch .LBB6_5
.LBB6_3:                                ;   in Loop: Header=BB6_5 Depth=1
	s_or_b64 exec, exec, s[8:9]
	s_waitcnt lgkmcnt(0)
	s_barrier
	ds_read_b32 v16, v4
	s_waitcnt lgkmcnt(0)
	s_barrier
	ds_bpermute_b32 v1, v1, v16
	v_cmp_ne_u32_e32 vcc, 0, v16
	s_waitcnt lgkmcnt(0)
	v_cmp_ne_u32_e64 s[2:3], 0, v1
	s_and_b64 s[2:3], vcc, s[2:3]
	v_cndmask_b32_e64 v1, 0, 1, s[2:3]
	ds_bpermute_b32 v1, v12, v1
	s_waitcnt lgkmcnt(0)
	v_cmp_ne_u32_e32 vcc, 0, v1
	s_and_b64 s[2:3], vcc, s[2:3]
	v_cndmask_b32_e64 v1, 0, 1, s[2:3]
	ds_bpermute_b32 v1, v13, v1
	s_waitcnt lgkmcnt(0)
	v_cmp_ne_u32_e32 vcc, 0, v1
	;; [unrolled: 5-line block ×3, first 2 shown]
	s_and_b64 s[2:3], vcc, s[2:3]
	v_cndmask_b32_e64 v1, 0, 1, s[2:3]
	ds_bpermute_b32 v1, v15, v1
	s_xor_b64 s[2:3], s[2:3], -1
	s_waitcnt lgkmcnt(0)
	v_cmp_eq_u32_e32 vcc, 0, v1
	s_or_b64 s[2:3], vcc, s[2:3]
.LBB6_4:                                ;   in Loop: Header=BB6_5 Depth=1
	s_and_b64 s[8:9], exec, s[2:3]
	s_or_b64 s[4:5], s[8:9], s[4:5]
	v_mov_b32_e32 v1, s15
	s_mov_b32 s15, s17
	s_andn2_b64 exec, exec, s[4:5]
	s_cbranch_execz .LBB6_10
.LBB6_5:                                ; =>This Inner Loop Header: Depth=1
	s_add_i32 s17, s15, 0xffffff00
	s_or_b64 s[2:3], s[2:3], exec
	s_cmp_lt_i32 s17, 0
	s_cbranch_scc1 .LBB6_4
; %bb.6:                                ;   in Loop: Header=BB6_5 Depth=1
	s_lshr_b32 s2, s17, 1
	v_add_u32_e32 v1, s2, v0
	v_lshlrev_b64 v[12:13], 2, v[1:2]
	v_mov_b32_e32 v1, s14
	v_add_co_u32_e32 v12, vcc, s13, v12
	v_addc_co_u32_e32 v13, vcc, v1, v13, vcc
	global_load_dword v1, v[12:13], off
	v_mov_b32_e32 v12, 0
	s_waitcnt vmcnt(0)
	v_cmp_class_f16_e64 s[8:9], v1, s16
	s_and_saveexec_b64 s[2:3], s[8:9]
; %bb.7:                                ;   in Loop: Header=BB6_5 Depth=1
	v_cmp_class_f16_sdwa s[8:9], v1, s16 src0_sel:WORD_1 src1_sel:DWORD
	v_cndmask_b32_e64 v12, 0, 1, s[8:9]
; %bb.8:                                ;   in Loop: Header=BB6_5 Depth=1
	s_or_b64 exec, exec, s[2:3]
	v_cmp_lt_i32_e32 vcc, v7, v6
	v_cndmask_b32_e32 v1, v5, v7, vcc
	v_lshlrev_b32_e32 v1, 2, v1
	ds_bpermute_b32 v13, v1, v12
	v_cmp_ne_u32_e32 vcc, 0, v12
	s_waitcnt lgkmcnt(0)
	v_cmp_ne_u32_e64 s[2:3], 0, v13
	s_and_b64 s[2:3], vcc, s[2:3]
	v_cmp_lt_i32_e32 vcc, v8, v6
	v_cndmask_b32_e32 v12, v5, v8, vcc
	v_cndmask_b32_e64 v13, 0, 1, s[2:3]
	v_lshlrev_b32_e32 v12, 2, v12
	ds_bpermute_b32 v13, v12, v13
	s_waitcnt lgkmcnt(0)
	v_cmp_ne_u32_e32 vcc, 0, v13
	s_and_b64 s[2:3], vcc, s[2:3]
	v_cmp_lt_i32_e32 vcc, v9, v6
	v_cndmask_b32_e32 v13, v5, v9, vcc
	v_cndmask_b32_e64 v14, 0, 1, s[2:3]
	v_lshlrev_b32_e32 v13, 2, v13
	ds_bpermute_b32 v14, v13, v14
	s_waitcnt lgkmcnt(0)
	v_cmp_ne_u32_e32 vcc, 0, v14
	s_and_b64 s[2:3], vcc, s[2:3]
	v_cmp_lt_i32_e32 vcc, v10, v6
	v_cndmask_b32_e32 v14, v5, v10, vcc
	v_cndmask_b32_e64 v15, 0, 1, s[2:3]
	v_lshlrev_b32_e32 v14, 2, v14
	ds_bpermute_b32 v15, v14, v15
	s_waitcnt lgkmcnt(0)
	v_cmp_ne_u32_e32 vcc, 0, v15
	s_and_b64 s[2:3], vcc, s[2:3]
	v_cmp_lt_i32_e32 vcc, v11, v6
	v_cndmask_b32_e32 v15, v5, v11, vcc
	v_cndmask_b32_e64 v16, 0, 1, s[2:3]
	v_lshlrev_b32_e32 v15, 2, v15
	ds_bpermute_b32 v16, v15, v16
	s_and_saveexec_b64 s[8:9], s[0:1]
	s_cbranch_execz .LBB6_3
; %bb.9:                                ;   in Loop: Header=BB6_5 Depth=1
	s_waitcnt lgkmcnt(0)
	v_cmp_ne_u32_e32 vcc, 0, v16
	s_and_b64 s[2:3], vcc, s[2:3]
	v_cndmask_b32_e64 v16, 0, 1, s[2:3]
	ds_write_b32 v3, v16
	s_branch .LBB6_3
.LBB6_10:
	s_or_b64 exec, exec, s[4:5]
	v_cmp_eq_u32_e32 vcc, 0, v0
	s_and_saveexec_b64 s[0:1], vcc
	s_cbranch_execz .LBB6_12
; %bb.11:
	s_mul_i32 s0, s12, s7
	s_add_i32 s0, s0, s6
	s_ashr_i32 s1, s0, 31
	s_lshl_b64 s[0:1], s[0:1], 2
	s_add_u32 s0, s10, s0
	s_addc_u32 s1, s11, s1
	v_mov_b32_e32 v0, 0
	global_store_dword v0, v1, s[0:1]
.LBB6_12:
	s_endpgm
	.section	.rodata,"a",@progbits
	.p2align	6, 0x0
	.amdhsa_kernel _ZL25flash_attn_mask_to_KV_maxILi1EEvPK7__half2Piiii
		.amdhsa_group_segment_fixed_size 128
		.amdhsa_private_segment_fixed_size 0
		.amdhsa_kernarg_size 288
		.amdhsa_user_sgpr_count 6
		.amdhsa_user_sgpr_private_segment_buffer 1
		.amdhsa_user_sgpr_dispatch_ptr 0
		.amdhsa_user_sgpr_queue_ptr 0
		.amdhsa_user_sgpr_kernarg_segment_ptr 1
		.amdhsa_user_sgpr_dispatch_id 0
		.amdhsa_user_sgpr_flat_scratch_init 0
		.amdhsa_user_sgpr_private_segment_size 0
		.amdhsa_uses_dynamic_stack 0
		.amdhsa_system_sgpr_private_segment_wavefront_offset 0
		.amdhsa_system_sgpr_workgroup_id_x 1
		.amdhsa_system_sgpr_workgroup_id_y 1
		.amdhsa_system_sgpr_workgroup_id_z 0
		.amdhsa_system_sgpr_workgroup_info 0
		.amdhsa_system_vgpr_workitem_id 0
		.amdhsa_next_free_vgpr 17
		.amdhsa_next_free_sgpr 18
		.amdhsa_reserve_vcc 1
		.amdhsa_reserve_flat_scratch 0
		.amdhsa_float_round_mode_32 0
		.amdhsa_float_round_mode_16_64 0
		.amdhsa_float_denorm_mode_32 3
		.amdhsa_float_denorm_mode_16_64 3
		.amdhsa_dx10_clamp 1
		.amdhsa_ieee_mode 1
		.amdhsa_fp16_overflow 0
		.amdhsa_exception_fp_ieee_invalid_op 0
		.amdhsa_exception_fp_denorm_src 0
		.amdhsa_exception_fp_ieee_div_zero 0
		.amdhsa_exception_fp_ieee_overflow 0
		.amdhsa_exception_fp_ieee_underflow 0
		.amdhsa_exception_fp_ieee_inexact 0
		.amdhsa_exception_int_div_zero 0
	.end_amdhsa_kernel
	.section	.text._ZL25flash_attn_mask_to_KV_maxILi1EEvPK7__half2Piiii,"axG",@progbits,_ZL25flash_attn_mask_to_KV_maxILi1EEvPK7__half2Piiii,comdat
.Lfunc_end6:
	.size	_ZL25flash_attn_mask_to_KV_maxILi1EEvPK7__half2Piiii, .Lfunc_end6-_ZL25flash_attn_mask_to_KV_maxILi1EEvPK7__half2Piiii
                                        ; -- End function
	.set _ZL25flash_attn_mask_to_KV_maxILi1EEvPK7__half2Piiii.num_vgpr, 17
	.set _ZL25flash_attn_mask_to_KV_maxILi1EEvPK7__half2Piiii.num_agpr, 0
	.set _ZL25flash_attn_mask_to_KV_maxILi1EEvPK7__half2Piiii.numbered_sgpr, 18
	.set _ZL25flash_attn_mask_to_KV_maxILi1EEvPK7__half2Piiii.num_named_barrier, 0
	.set _ZL25flash_attn_mask_to_KV_maxILi1EEvPK7__half2Piiii.private_seg_size, 0
	.set _ZL25flash_attn_mask_to_KV_maxILi1EEvPK7__half2Piiii.uses_vcc, 1
	.set _ZL25flash_attn_mask_to_KV_maxILi1EEvPK7__half2Piiii.uses_flat_scratch, 0
	.set _ZL25flash_attn_mask_to_KV_maxILi1EEvPK7__half2Piiii.has_dyn_sized_stack, 0
	.set _ZL25flash_attn_mask_to_KV_maxILi1EEvPK7__half2Piiii.has_recursion, 0
	.set _ZL25flash_attn_mask_to_KV_maxILi1EEvPK7__half2Piiii.has_indirect_call, 0
	.section	.AMDGPU.csdata,"",@progbits
; Kernel info:
; codeLenInByte = 752
; TotalNumSgprs: 22
; NumVgprs: 17
; ScratchSize: 0
; MemoryBound: 0
; FloatMode: 240
; IeeeMode: 1
; LDSByteSize: 128 bytes/workgroup (compile time only)
; SGPRBlocks: 2
; VGPRBlocks: 4
; NumSGPRsForWavesPerEU: 22
; NumVGPRsForWavesPerEU: 17
; Occupancy: 10
; WaveLimiterHint : 0
; COMPUTE_PGM_RSRC2:SCRATCH_EN: 0
; COMPUTE_PGM_RSRC2:USER_SGPR: 6
; COMPUTE_PGM_RSRC2:TRAP_HANDLER: 0
; COMPUTE_PGM_RSRC2:TGID_X_EN: 1
; COMPUTE_PGM_RSRC2:TGID_Y_EN: 1
; COMPUTE_PGM_RSRC2:TGID_Z_EN: 0
; COMPUTE_PGM_RSRC2:TIDIG_COMP_CNT: 0
	.section	.text._ZL33flash_attn_stream_k_fixup_uniformILi512ELi1ELi16EEvPfPK15HIP_vector_typeIfLj2EEiiiiiiS1_IjLj3EES5_S5_,"axG",@progbits,_ZL33flash_attn_stream_k_fixup_uniformILi512ELi1ELi16EEvPfPK15HIP_vector_typeIfLj2EEiiiiiiS1_IjLj3EES5_S5_,comdat
	.globl	_ZL33flash_attn_stream_k_fixup_uniformILi512ELi1ELi16EEvPfPK15HIP_vector_typeIfLj2EEiiiiiiS1_IjLj3EES5_S5_ ; -- Begin function _ZL33flash_attn_stream_k_fixup_uniformILi512ELi1ELi16EEvPfPK15HIP_vector_typeIfLj2EEiiiiiiS1_IjLj3EES5_S5_
	.p2align	8
	.type	_ZL33flash_attn_stream_k_fixup_uniformILi512ELi1ELi16EEvPfPK15HIP_vector_typeIfLj2EEiiiiiiS1_IjLj3EES5_S5_,@function
_ZL33flash_attn_stream_k_fixup_uniformILi512ELi1ELi16EEvPfPK15HIP_vector_typeIfLj2EEiiiiiiS1_IjLj3EES5_S5_: ; @_ZL33flash_attn_stream_k_fixup_uniformILi512ELi1ELi16EEvPfPK15HIP_vector_typeIfLj2EEiiiiiiS1_IjLj3EES5_S5_
; %bb.0:
	s_load_dwordx8 s[12:19], s[4:5], 0x1c
	s_load_dwordx2 s[10:11], s[4:5], 0x10
	s_load_dwordx4 s[0:3], s[4:5], 0x3c
	s_waitcnt lgkmcnt(0)
	s_mul_hi_u32 s9, s15, s6
	s_add_i32 s9, s6, s9
	s_lshr_b32 s9, s9, s16
	s_mul_i32 s15, s9, s17
	s_sub_i32 s16, s6, s15
	s_mul_hi_u32 s15, s16, s18
	s_add_i32 s15, s16, s15
	s_lshr_b32 s15, s15, s19
	s_mul_i32 s0, s15, s0
	s_sub_i32 s0, s16, s0
	;; [unrolled: 5-line block ×3, first 2 shown]
	s_lshl_b32 s17, s1, 4
	s_add_i32 s16, s16, s7
	s_cmp_lt_i32 s16, s10
	s_cselect_b64 s[0:1], -1, 0
	s_add_i32 s17, s17, s8
	s_cmp_lt_i32 s17, s13
	s_cselect_b64 s[2:3], -1, 0
	s_and_b64 s[0:1], s[0:1], s[2:3]
	s_andn2_b64 vcc, exec, s[0:1]
	s_cbranch_vccnz .LBB7_6
; %bb.1:
	s_mul_i32 s9, s9, s10
	s_load_dwordx4 s[0:3], s[4:5], 0x0
	s_mul_i32 s15, s15, s13
	s_add_i32 s4, s16, s9
	s_mul_i32 s4, s4, s11
	s_add_i32 s5, s17, s15
	s_add_i32 s5, s5, s4
	v_lshl_or_b32 v1, s5, 9, v0
	v_ashrrev_i32_e32 v2, 31, v1
	v_lshlrev_b64 v[1:2], 2, v[1:2]
	s_waitcnt lgkmcnt(0)
	v_mov_b32_e32 v3, s1
	v_add_co_u32_e32 v1, vcc, s0, v1
	v_addc_co_u32_e32 v2, vcc, v3, v2, vcc
	global_load_dword v8, v[1:2], off
	s_mul_i32 s9, s14, s6
	s_add_i32 s4, s9, s14
	s_add_i32 s0, s7, s4
	s_lshl_b32 s0, s0, 4
	s_add_i32 s0, s0, s8
	s_add_i32 s0, s0, -16
	s_ashr_i32 s1, s0, 31
	s_lshl_b64 s[0:1], s[0:1], 3
	s_add_u32 s0, s2, s0
	s_addc_u32 s1, s3, s1
	s_load_dword s5, s[0:1], 0x4
	s_add_i32 s10, s4, -2
	s_cmp_lt_i32 s10, s9
	s_cbranch_scc1 .LBB7_4
; %bb.2:
	s_lshl_b32 s10, s12, 6
	s_ashr_i32 s11, s10, 31
	s_lshl_b64 s[10:11], s[10:11], 2
	s_add_u32 s10, s2, s10
	s_addc_u32 s13, s3, s11
	s_load_dword s0, s[0:1], 0x0
	s_add_i32 s6, s6, 1
	s_lshl_b32 s1, s8, 9
	s_add_i32 s12, s7, s12
	s_mul_i32 s6, s14, s6
	s_lshl_b32 s7, s7, 13
	s_add_i32 s12, s12, s4
	s_lshl_b32 s6, s6, 13
	s_add_i32 s1, s1, s7
	s_add_i32 s11, s4, -1
	s_lshl_b32 s4, s12, 4
	s_add_i32 s1, s1, s6
	s_add_i32 s8, s8, s4
	v_or_b32_e32 v0, s1, v0
	s_sub_i32 s4, s8, 32
	v_add_u32_e32 v3, 0xffffc000, v0
	s_waitcnt lgkmcnt(0)
	v_mov_b32_e32 v7, s5
	v_mov_b32_e32 v6, s0
	;; [unrolled: 1-line block ×3, first 2 shown]
	s_mov_b32 s6, 0x3fb8aa3b
	s_mov_b32 s7, 0xc2ce8ed0
	;; [unrolled: 1-line block ×3, first 2 shown]
	v_mov_b32_e32 v5, 0x7f800000
	s_mov_b32 s12, 0xc1a00000
.LBB7_3:                                ; =>This Inner Loop Header: Depth=1
	v_ashrrev_i32_e32 v4, 31, v3
	v_lshlrev_b64 v[9:10], 2, v[3:4]
	s_ashr_i32 s5, s4, 31
	v_add_co_u32_e32 v9, vcc, s10, v9
	v_addc_co_u32_e32 v10, vcc, v0, v10, vcc
	global_load_dword v4, v[9:10], off
	s_lshl_b64 s[0:1], s[4:5], 3
	s_add_u32 s0, s2, s0
	s_addc_u32 s1, s3, s1
	s_load_dwordx2 s[14:15], s[0:1], 0x0
	s_waitcnt vmcnt(1)
	v_mov_b32_e32 v9, v8
	v_max_f32_e32 v8, v6, v6
	v_mov_b32_e32 v10, v7
	s_add_i32 s11, s11, -1
	s_waitcnt lgkmcnt(0)
	v_max_f32_e64 v7, s14, s14
	v_max_f32_e32 v7, v8, v7
	v_sub_f32_e32 v11, s14, v7
	v_sub_f32_e32 v8, v6, v7
	v_mul_f32_e32 v12, 0x3fb8aa3b, v11
	v_mov_b32_e32 v6, v7
	v_mul_f32_e32 v7, 0x3fb8aa3b, v8
	v_fma_f32 v15, v11, s6, -v12
	v_rndne_f32_e32 v16, v12
	v_fma_f32 v13, v8, s6, -v7
	v_rndne_f32_e32 v14, v7
	v_fmac_f32_e32 v15, 0x32a5705f, v11
	v_sub_f32_e32 v12, v12, v16
	v_fmac_f32_e32 v13, 0x32a5705f, v8
	v_sub_f32_e32 v7, v7, v14
	v_add_f32_e32 v12, v12, v15
	v_cvt_i32_f32_e32 v16, v16
	v_add_f32_e32 v7, v7, v13
	v_exp_f32_e32 v12, v12
	v_cvt_i32_f32_e32 v14, v14
	v_exp_f32_e32 v7, v7
	v_cmp_ngt_f32_e32 vcc, s7, v11
	v_ldexp_f32 v12, v12, v16
	v_cmp_ngt_f32_e64 s[0:1], s7, v8
	v_ldexp_f32 v7, v7, v14
	v_cndmask_b32_e32 v12, 0, v12, vcc
	v_cmp_nlt_f32_e32 vcc, s8, v11
	v_cndmask_b32_e64 v7, 0, v7, s[0:1]
	v_cmp_nlt_f32_e64 s[0:1], s8, v8
	v_cndmask_b32_e32 v12, v5, v12, vcc
	v_cmp_le_f32_e32 vcc, s12, v11
	v_cndmask_b32_e64 v7, v5, v7, s[0:1]
	v_cmp_le_f32_e64 s[0:1], s12, v8
	v_cndmask_b32_e32 v8, 0, v12, vcc
	s_add_i32 s4, s4, -16
	v_cndmask_b32_e64 v11, 0, v7, s[0:1]
	v_mul_f32_e32 v7, s15, v8
	v_add_u32_e32 v3, 0xffffe000, v3
	s_cmp_le_i32 s11, s9
	v_fmac_f32_e32 v7, v10, v11
	s_waitcnt vmcnt(0)
	v_mul_f32_e32 v8, v4, v8
	v_fmac_f32_e32 v8, v9, v11
	s_cbranch_scc0 .LBB7_3
	s_branch .LBB7_5
.LBB7_4:
	s_waitcnt lgkmcnt(0)
	v_mov_b32_e32 v7, s5
.LBB7_5:
	s_waitcnt vmcnt(0)
	v_div_scale_f32 v0, s[0:1], v7, v7, v8
	v_div_scale_f32 v3, vcc, v8, v7, v8
	v_rcp_f32_e32 v4, v0
	v_fma_f32 v5, -v0, v4, 1.0
	v_fmac_f32_e32 v4, v5, v4
	v_mul_f32_e32 v5, v3, v4
	v_fma_f32 v6, -v0, v5, v3
	v_fmac_f32_e32 v5, v6, v4
	v_fma_f32 v0, -v0, v5, v3
	v_div_fmas_f32 v0, v0, v4, v5
	v_div_fixup_f32 v0, v0, v7, v8
	global_store_dword v[1:2], v0, off
.LBB7_6:
	s_endpgm
	.section	.rodata,"a",@progbits
	.p2align	6, 0x0
	.amdhsa_kernel _ZL33flash_attn_stream_k_fixup_uniformILi512ELi1ELi16EEvPfPK15HIP_vector_typeIfLj2EEiiiiiiS1_IjLj3EES5_S5_
		.amdhsa_group_segment_fixed_size 0
		.amdhsa_private_segment_fixed_size 0
		.amdhsa_kernarg_size 76
		.amdhsa_user_sgpr_count 6
		.amdhsa_user_sgpr_private_segment_buffer 1
		.amdhsa_user_sgpr_dispatch_ptr 0
		.amdhsa_user_sgpr_queue_ptr 0
		.amdhsa_user_sgpr_kernarg_segment_ptr 1
		.amdhsa_user_sgpr_dispatch_id 0
		.amdhsa_user_sgpr_flat_scratch_init 0
		.amdhsa_user_sgpr_private_segment_size 0
		.amdhsa_uses_dynamic_stack 0
		.amdhsa_system_sgpr_private_segment_wavefront_offset 0
		.amdhsa_system_sgpr_workgroup_id_x 1
		.amdhsa_system_sgpr_workgroup_id_y 1
		.amdhsa_system_sgpr_workgroup_id_z 1
		.amdhsa_system_sgpr_workgroup_info 0
		.amdhsa_system_vgpr_workitem_id 0
		.amdhsa_next_free_vgpr 17
		.amdhsa_next_free_sgpr 20
		.amdhsa_reserve_vcc 1
		.amdhsa_reserve_flat_scratch 0
		.amdhsa_float_round_mode_32 0
		.amdhsa_float_round_mode_16_64 0
		.amdhsa_float_denorm_mode_32 3
		.amdhsa_float_denorm_mode_16_64 3
		.amdhsa_dx10_clamp 1
		.amdhsa_ieee_mode 1
		.amdhsa_fp16_overflow 0
		.amdhsa_exception_fp_ieee_invalid_op 0
		.amdhsa_exception_fp_denorm_src 0
		.amdhsa_exception_fp_ieee_div_zero 0
		.amdhsa_exception_fp_ieee_overflow 0
		.amdhsa_exception_fp_ieee_underflow 0
		.amdhsa_exception_fp_ieee_inexact 0
		.amdhsa_exception_int_div_zero 0
	.end_amdhsa_kernel
	.section	.text._ZL33flash_attn_stream_k_fixup_uniformILi512ELi1ELi16EEvPfPK15HIP_vector_typeIfLj2EEiiiiiiS1_IjLj3EES5_S5_,"axG",@progbits,_ZL33flash_attn_stream_k_fixup_uniformILi512ELi1ELi16EEvPfPK15HIP_vector_typeIfLj2EEiiiiiiS1_IjLj3EES5_S5_,comdat
.Lfunc_end7:
	.size	_ZL33flash_attn_stream_k_fixup_uniformILi512ELi1ELi16EEvPfPK15HIP_vector_typeIfLj2EEiiiiiiS1_IjLj3EES5_S5_, .Lfunc_end7-_ZL33flash_attn_stream_k_fixup_uniformILi512ELi1ELi16EEvPfPK15HIP_vector_typeIfLj2EEiiiiiiS1_IjLj3EES5_S5_
                                        ; -- End function
	.set _ZL33flash_attn_stream_k_fixup_uniformILi512ELi1ELi16EEvPfPK15HIP_vector_typeIfLj2EEiiiiiiS1_IjLj3EES5_S5_.num_vgpr, 17
	.set _ZL33flash_attn_stream_k_fixup_uniformILi512ELi1ELi16EEvPfPK15HIP_vector_typeIfLj2EEiiiiiiS1_IjLj3EES5_S5_.num_agpr, 0
	.set _ZL33flash_attn_stream_k_fixup_uniformILi512ELi1ELi16EEvPfPK15HIP_vector_typeIfLj2EEiiiiiiS1_IjLj3EES5_S5_.numbered_sgpr, 20
	.set _ZL33flash_attn_stream_k_fixup_uniformILi512ELi1ELi16EEvPfPK15HIP_vector_typeIfLj2EEiiiiiiS1_IjLj3EES5_S5_.num_named_barrier, 0
	.set _ZL33flash_attn_stream_k_fixup_uniformILi512ELi1ELi16EEvPfPK15HIP_vector_typeIfLj2EEiiiiiiS1_IjLj3EES5_S5_.private_seg_size, 0
	.set _ZL33flash_attn_stream_k_fixup_uniformILi512ELi1ELi16EEvPfPK15HIP_vector_typeIfLj2EEiiiiiiS1_IjLj3EES5_S5_.uses_vcc, 1
	.set _ZL33flash_attn_stream_k_fixup_uniformILi512ELi1ELi16EEvPfPK15HIP_vector_typeIfLj2EEiiiiiiS1_IjLj3EES5_S5_.uses_flat_scratch, 0
	.set _ZL33flash_attn_stream_k_fixup_uniformILi512ELi1ELi16EEvPfPK15HIP_vector_typeIfLj2EEiiiiiiS1_IjLj3EES5_S5_.has_dyn_sized_stack, 0
	.set _ZL33flash_attn_stream_k_fixup_uniformILi512ELi1ELi16EEvPfPK15HIP_vector_typeIfLj2EEiiiiiiS1_IjLj3EES5_S5_.has_recursion, 0
	.set _ZL33flash_attn_stream_k_fixup_uniformILi512ELi1ELi16EEvPfPK15HIP_vector_typeIfLj2EEiiiiiiS1_IjLj3EES5_S5_.has_indirect_call, 0
	.section	.AMDGPU.csdata,"",@progbits
; Kernel info:
; codeLenInByte = 828
; TotalNumSgprs: 24
; NumVgprs: 17
; ScratchSize: 0
; MemoryBound: 0
; FloatMode: 240
; IeeeMode: 1
; LDSByteSize: 0 bytes/workgroup (compile time only)
; SGPRBlocks: 2
; VGPRBlocks: 4
; NumSGPRsForWavesPerEU: 24
; NumVGPRsForWavesPerEU: 17
; Occupancy: 10
; WaveLimiterHint : 0
; COMPUTE_PGM_RSRC2:SCRATCH_EN: 0
; COMPUTE_PGM_RSRC2:USER_SGPR: 6
; COMPUTE_PGM_RSRC2:TRAP_HANDLER: 0
; COMPUTE_PGM_RSRC2:TGID_X_EN: 1
; COMPUTE_PGM_RSRC2:TGID_Y_EN: 1
; COMPUTE_PGM_RSRC2:TGID_Z_EN: 1
; COMPUTE_PGM_RSRC2:TIDIG_COMP_CNT: 0
	.section	.text._ZL33flash_attn_stream_k_fixup_generalILi512ELi1ELi16EEvPfPK15HIP_vector_typeIfLj2EEiiiiS1_IjLj3EES5_S5_S5_,"axG",@progbits,_ZL33flash_attn_stream_k_fixup_generalILi512ELi1ELi16EEvPfPK15HIP_vector_typeIfLj2EEiiiiS1_IjLj3EES5_S5_S5_,comdat
	.globl	_ZL33flash_attn_stream_k_fixup_generalILi512ELi1ELi16EEvPfPK15HIP_vector_typeIfLj2EEiiiiS1_IjLj3EES5_S5_S5_ ; -- Begin function _ZL33flash_attn_stream_k_fixup_generalILi512ELi1ELi16EEvPfPK15HIP_vector_typeIfLj2EEiiiiS1_IjLj3EES5_S5_S5_
	.p2align	8
	.type	_ZL33flash_attn_stream_k_fixup_generalILi512ELi1ELi16EEvPfPK15HIP_vector_typeIfLj2EEiiiiS1_IjLj3EES5_S5_S5_,@function
_ZL33flash_attn_stream_k_fixup_generalILi512ELi1ELi16EEvPfPK15HIP_vector_typeIfLj2EEiiiiS1_IjLj3EES5_S5_S5_: ; @_ZL33flash_attn_stream_k_fixup_generalILi512ELi1ELi16EEvPfPK15HIP_vector_typeIfLj2EEiiiiS1_IjLj3EES5_S5_S5_
; %bb.0:
	s_load_dwordx4 s[0:3], s[4:5], 0x10
	s_load_dword s9, s[4:5], 0x50
	s_mov_b32 s12, 0
	s_waitcnt lgkmcnt(0)
	s_mul_hi_i32 s13, s3, s6
	s_cmp_lg_u64 s[12:13], 0
	s_mul_i32 s18, s3, s6
	s_cbranch_scc0 .LBB8_20
; %bb.1:
	s_add_u32 s10, s9, 0
	s_addc_u32 s11, 0, 0
	s_xor_b64 s[10:11], s[10:11], 0
	v_cvt_f32_u32_e32 v1, s10
	v_cvt_f32_u32_e32 v2, s11
	s_sub_u32 s12, 0, s10
	s_subb_u32 s19, 0, s11
	v_madmk_f32 v1, v2, 0x4f800000, v1
	v_rcp_f32_e32 v1, v1
	v_mul_f32_e32 v1, 0x5f7ffffc, v1
	v_mul_f32_e32 v2, 0x2f800000, v1
	v_trunc_f32_e32 v2, v2
	v_madmk_f32 v1, v2, 0xcf800000, v1
	v_cvt_u32_f32_e32 v2, v2
	v_cvt_u32_f32_e32 v1, v1
	v_readfirstlane_b32 s20, v2
	v_readfirstlane_b32 s14, v1
	s_mul_i32 s15, s12, s20
	s_mul_hi_u32 s22, s12, s14
	s_mul_i32 s21, s19, s14
	s_add_i32 s15, s22, s15
	s_add_i32 s15, s15, s21
	s_mul_i32 s23, s12, s14
	s_mul_i32 s22, s14, s15
	s_mul_hi_u32 s24, s14, s23
	s_mul_hi_u32 s21, s14, s15
	s_add_u32 s22, s24, s22
	s_addc_u32 s21, 0, s21
	s_mul_hi_u32 s25, s20, s23
	s_mul_i32 s23, s20, s23
	s_add_u32 s22, s22, s23
	s_mul_hi_u32 s24, s20, s15
	s_addc_u32 s21, s21, s25
	s_addc_u32 s22, s24, 0
	s_mul_i32 s15, s20, s15
	s_add_u32 s15, s21, s15
	s_addc_u32 s21, 0, s22
	s_add_u32 s22, s14, s15
	s_cselect_b64 s[14:15], -1, 0
	s_cmp_lg_u64 s[14:15], 0
	s_addc_u32 s20, s20, s21
	s_mul_i32 s14, s12, s20
	s_mul_hi_u32 s15, s12, s22
	s_add_i32 s14, s15, s14
	s_mul_i32 s19, s19, s22
	s_add_i32 s14, s14, s19
	s_mul_i32 s12, s12, s22
	s_mul_hi_u32 s19, s20, s12
	s_mul_i32 s21, s20, s12
	s_mul_i32 s24, s22, s14
	s_mul_hi_u32 s12, s22, s12
	s_mul_hi_u32 s23, s22, s14
	s_add_u32 s12, s12, s24
	s_addc_u32 s23, 0, s23
	s_add_u32 s12, s12, s21
	s_mul_hi_u32 s15, s20, s14
	s_addc_u32 s12, s23, s19
	s_addc_u32 s15, s15, 0
	s_mul_i32 s14, s20, s14
	s_add_u32 s12, s12, s14
	s_addc_u32 s19, 0, s15
	s_add_u32 s21, s22, s12
	s_cselect_b64 s[14:15], -1, 0
	s_cmp_lg_u64 s[14:15], 0
	s_addc_u32 s19, s20, s19
	s_ashr_i32 s14, s13, 31
	s_add_u32 s12, s18, s14
	s_mov_b32 s15, s14
	s_addc_u32 s13, s13, s14
	s_xor_b64 s[12:13], s[12:13], s[14:15]
	s_mul_i32 s22, s12, s19
	s_mul_hi_u32 s23, s12, s21
	s_mul_hi_u32 s20, s12, s19
	s_add_u32 s22, s23, s22
	s_addc_u32 s20, 0, s20
	s_mul_hi_u32 s24, s13, s21
	s_mul_i32 s21, s13, s21
	s_add_u32 s21, s22, s21
	s_mul_hi_u32 s23, s13, s19
	s_addc_u32 s20, s20, s24
	s_addc_u32 s21, s23, 0
	s_mul_i32 s19, s13, s19
	s_add_u32 s19, s20, s19
	s_addc_u32 s24, 0, s21
	s_mul_i32 s20, s10, s24
	s_mul_hi_u32 s21, s10, s19
	s_add_i32 s20, s21, s20
	s_mul_i32 s21, s11, s19
	s_add_i32 s25, s20, s21
	s_sub_i32 s22, s13, s25
	s_mul_i32 s20, s10, s19
	s_sub_u32 s12, s12, s20
	s_cselect_b64 s[20:21], -1, 0
	s_cmp_lg_u64 s[20:21], 0
	s_subb_u32 s26, s22, s11
	s_sub_u32 s27, s12, s10
	s_cselect_b64 s[22:23], -1, 0
	s_cmp_lg_u64 s[22:23], 0
	s_subb_u32 s22, s26, 0
	s_cmp_ge_u32 s22, s11
	s_cselect_b32 s23, -1, 0
	s_cmp_ge_u32 s27, s10
	s_cselect_b32 s26, -1, 0
	s_cmp_eq_u32 s22, s11
	s_cselect_b32 s22, s26, s23
	s_add_u32 s23, s19, 1
	s_addc_u32 s26, s24, 0
	s_add_u32 s27, s19, 2
	s_addc_u32 s28, s24, 0
	s_cmp_lg_u32 s22, 0
	s_cselect_b32 s22, s27, s23
	s_cselect_b32 s23, s28, s26
	s_cmp_lg_u64 s[20:21], 0
	s_subb_u32 s13, s13, s25
	s_cmp_ge_u32 s13, s11
	s_cselect_b32 s20, -1, 0
	s_cmp_ge_u32 s12, s10
	s_cselect_b32 s10, -1, 0
	s_cmp_eq_u32 s13, s11
	s_cselect_b32 s10, s10, s20
	s_cmp_lg_u32 s10, 0
	s_cselect_b32 s11, s23, s24
	s_cselect_b32 s10, s22, s19
	s_xor_b64 s[12:13], s[14:15], 0
	s_xor_b64 s[10:11], s[10:11], s[12:13]
	s_sub_u32 s10, s10, s12
	s_load_dwordx4 s[12:15], s[4:5], 0x44
	s_cbranch_execnz .LBB8_3
.LBB8_2:
	v_cvt_f32_u32_e32 v1, s9
	s_sub_i32 s10, 0, s9
	v_rcp_iflag_f32_e32 v1, v1
	v_mul_f32_e32 v1, 0x4f7ffffe, v1
	v_cvt_u32_f32_e32 v1, v1
	v_readfirstlane_b32 s11, v1
	s_mul_i32 s10, s10, s11
	s_mul_hi_u32 s10, s11, s10
	s_add_i32 s11, s11, s10
	s_mul_hi_u32 s10, s18, s11
	s_waitcnt lgkmcnt(0)
	s_mul_i32 s15, s10, s9
	s_sub_i32 s15, s18, s15
	s_add_i32 s11, s10, 1
	s_sub_i32 s16, s15, s9
	s_cmp_ge_u32 s15, s9
	s_cselect_b32 s10, s11, s10
	s_cselect_b32 s15, s16, s15
	s_add_i32 s11, s10, 1
	s_cmp_ge_u32 s15, s9
	s_cselect_b32 s10, s11, s10
.LBB8_3:
	s_add_i32 s11, s6, 1
	s_mul_hi_i32 s21, s3, s11
	s_mov_b32 s20, 0
	s_cmp_lg_u64 s[20:21], 0
	s_mul_i32 s11, s3, s11
	s_cbranch_scc0 .LBB8_21
; %bb.4:
	s_add_u32 s16, s9, 0
	s_addc_u32 s17, 0, 0
	s_xor_b64 s[18:19], s[16:17], 0
	v_cvt_f32_u32_e32 v1, s18
	v_cvt_f32_u32_e32 v2, s19
	s_waitcnt lgkmcnt(0)
	s_sub_u32 s15, 0, s18
	s_subb_u32 s20, 0, s19
	v_madmk_f32 v1, v2, 0x4f800000, v1
	v_rcp_f32_e32 v1, v1
	v_mul_f32_e32 v1, 0x5f7ffffc, v1
	v_mul_f32_e32 v2, 0x2f800000, v1
	v_trunc_f32_e32 v2, v2
	v_madmk_f32 v1, v2, 0xcf800000, v1
	v_cvt_u32_f32_e32 v2, v2
	v_cvt_u32_f32_e32 v1, v1
	v_readfirstlane_b32 s24, v2
	v_readfirstlane_b32 s22, v1
	s_mul_i32 s23, s15, s24
	s_mul_hi_u32 s26, s15, s22
	s_mul_i32 s25, s20, s22
	s_add_i32 s23, s26, s23
	s_add_i32 s23, s23, s25
	s_mul_i32 s27, s15, s22
	s_mul_i32 s26, s22, s23
	s_mul_hi_u32 s28, s22, s27
	s_mul_hi_u32 s25, s22, s23
	s_add_u32 s26, s28, s26
	s_addc_u32 s25, 0, s25
	s_mul_hi_u32 s29, s24, s27
	s_mul_i32 s27, s24, s27
	s_add_u32 s26, s26, s27
	s_mul_hi_u32 s28, s24, s23
	s_addc_u32 s25, s25, s29
	s_addc_u32 s26, s28, 0
	s_mul_i32 s23, s24, s23
	s_add_u32 s23, s25, s23
	s_addc_u32 s25, 0, s26
	s_add_u32 s26, s22, s23
	s_cselect_b64 s[22:23], -1, 0
	s_cmp_lg_u64 s[22:23], 0
	s_addc_u32 s24, s24, s25
	s_mul_i32 s22, s15, s24
	s_mul_hi_u32 s23, s15, s26
	s_add_i32 s22, s23, s22
	s_mul_i32 s20, s20, s26
	s_add_i32 s22, s22, s20
	s_mul_i32 s15, s15, s26
	s_mul_hi_u32 s23, s24, s15
	s_mul_i32 s25, s24, s15
	s_mul_i32 s28, s26, s22
	s_mul_hi_u32 s15, s26, s15
	s_mul_hi_u32 s27, s26, s22
	s_add_u32 s15, s15, s28
	s_addc_u32 s27, 0, s27
	s_add_u32 s15, s15, s25
	s_mul_hi_u32 s20, s24, s22
	s_addc_u32 s15, s27, s23
	s_addc_u32 s20, s20, 0
	s_mul_i32 s22, s24, s22
	s_add_u32 s15, s15, s22
	s_addc_u32 s20, 0, s20
	s_add_u32 s15, s26, s15
	s_cselect_b64 s[22:23], -1, 0
	s_cmp_lg_u64 s[22:23], 0
	s_addc_u32 s24, s24, s20
	s_ashr_i32 s22, s21, 31
	s_add_u32 s20, s11, s22
	s_mov_b32 s23, s22
	s_addc_u32 s21, s21, s22
	s_xor_b64 s[20:21], s[20:21], s[22:23]
	s_mul_i32 s26, s20, s24
	s_mul_hi_u32 s27, s20, s15
	s_mul_hi_u32 s25, s20, s24
	s_add_u32 s26, s27, s26
	s_addc_u32 s25, 0, s25
	s_mul_hi_u32 s28, s21, s15
	s_mul_i32 s15, s21, s15
	s_add_u32 s15, s26, s15
	s_mul_hi_u32 s27, s21, s24
	s_addc_u32 s15, s25, s28
	s_addc_u32 s25, s27, 0
	s_mul_i32 s24, s21, s24
	s_add_u32 s15, s15, s24
	s_addc_u32 s28, 0, s25
	s_mul_i32 s24, s18, s28
	s_mul_hi_u32 s25, s18, s15
	s_add_i32 s24, s25, s24
	s_mul_i32 s25, s19, s15
	s_add_i32 s29, s24, s25
	s_sub_i32 s26, s21, s29
	s_mul_i32 s24, s18, s15
	s_sub_u32 s20, s20, s24
	s_cselect_b64 s[24:25], -1, 0
	s_cmp_lg_u64 s[24:25], 0
	s_subb_u32 s30, s26, s19
	s_sub_u32 s31, s20, s18
	s_cselect_b64 s[26:27], -1, 0
	s_cmp_lg_u64 s[26:27], 0
	s_subb_u32 s26, s30, 0
	s_cmp_ge_u32 s26, s19
	s_cselect_b32 s27, -1, 0
	s_cmp_ge_u32 s31, s18
	s_cselect_b32 s30, -1, 0
	s_cmp_eq_u32 s26, s19
	s_cselect_b32 s26, s30, s27
	s_add_u32 s27, s15, 1
	s_addc_u32 s30, s28, 0
	s_add_u32 s31, s15, 2
	s_addc_u32 s33, s28, 0
	s_cmp_lg_u32 s26, 0
	s_cselect_b32 s26, s31, s27
	s_cselect_b32 s27, s33, s30
	s_cmp_lg_u64 s[24:25], 0
	s_subb_u32 s21, s21, s29
	s_cmp_ge_u32 s21, s19
	s_cselect_b32 s24, -1, 0
	s_cmp_ge_u32 s20, s18
	s_cselect_b32 s18, -1, 0
	s_cmp_eq_u32 s21, s19
	s_cselect_b32 s18, s18, s24
	s_cmp_lg_u32 s18, 0
	s_cselect_b32 s19, s27, s28
	s_cselect_b32 s18, s26, s15
	s_xor_b64 s[20:21], s[22:23], 0
	s_xor_b64 s[18:19], s[18:19], s[20:21]
	s_sub_u32 s18, s18, s20
	s_cbranch_execnz .LBB8_6
.LBB8_5:
	v_cvt_f32_u32_e32 v1, s9
	s_waitcnt lgkmcnt(0)
	s_sub_i32 s15, 0, s9
	v_rcp_iflag_f32_e32 v1, v1
	v_mul_f32_e32 v1, 0x4f7ffffe, v1
	v_cvt_u32_f32_e32 v1, v1
	v_readfirstlane_b32 s16, v1
	s_mul_i32 s15, s15, s16
	s_mul_hi_u32 s15, s16, s15
	s_add_i32 s16, s16, s15
	s_mul_hi_u32 s15, s11, s16
	s_mul_i32 s17, s15, s9
	s_sub_i32 s11, s11, s17
	s_add_i32 s16, s15, 1
	s_sub_i32 s17, s11, s9
	s_cmp_ge_u32 s11, s9
	s_cselect_b32 s15, s16, s15
	s_cselect_b32 s11, s17, s11
	s_add_i32 s16, s15, 1
	s_cmp_ge_u32 s11, s9
	s_cselect_b32 s18, s16, s15
.LBB8_6:
	s_cmp_eq_u32 s10, s18
	s_waitcnt lgkmcnt(0)
	s_mul_hi_u32 s11, s10, s12
	s_cselect_b64 s[16:17], -1, 0
	s_add_i32 s11, s11, s10
	s_lshr_b32 s11, s11, s13
	s_mul_i32 s15, s11, s14
	s_cmp_eq_u32 s15, s10
	s_mul_hi_u32 s15, s18, s12
	s_cselect_b64 s[20:21], -1, 0
	s_add_i32 s15, s15, s18
	s_lshr_b32 s15, s15, s13
	s_cmp_eq_u32 s11, s15
	s_mul_i32 s15, s15, s14
	s_cselect_b64 s[22:23], -1, 0
	s_cmp_lg_u32 s15, s18
	s_cselect_b64 s[18:19], -1, 0
	s_and_b64 s[18:19], s[22:23], s[18:19]
	s_or_b64 s[16:17], s[16:17], s[20:21]
	s_or_b64 s[16:17], s[16:17], s[18:19]
	s_and_b64 vcc, exec, s[16:17]
	s_cbranch_vccnz .LBB8_23
; %bb.7:
	s_load_dwordx8 s[20:27], s[4:5], 0x20
	s_load_dword s15, s[4:5], 0x40
	s_waitcnt lgkmcnt(0)
	s_mul_hi_u32 s16, s10, s20
	s_add_i32 s16, s16, s10
	s_lshr_b32 s20, s16, s21
	s_mul_i32 s16, s20, s22
	s_sub_i32 s16, s10, s16
	s_mul_hi_u32 s17, s16, s23
	s_add_i32 s17, s16, s17
	s_lshr_b32 s21, s17, s24
	s_mul_i32 s17, s21, s25
	s_sub_i32 s16, s16, s17
	s_mul_hi_u32 s17, s16, s26
	s_add_i32 s17, s16, s17
	s_lshr_b32 s17, s17, s27
	s_mul_i32 s15, s17, s15
	s_sub_i32 s15, s16, s15
	s_mul_hi_u32 s16, s15, s12
	s_add_i32 s15, s15, s16
	s_lshr_b32 s23, s15, s13
	s_lshl_b32 s24, s17, 4
	s_add_i32 s23, s23, s7
	s_cmp_lt_i32 s23, s0
	s_cselect_b64 s[16:17], -1, 0
	s_add_i32 s24, s24, s8
	s_cmp_lt_i32 s24, s2
	s_cselect_b64 s[18:19], -1, 0
	s_and_b64 s[16:17], s[16:17], s[18:19]
	s_andn2_b64 vcc, exec, s[16:17]
	s_cbranch_vccnz .LBB8_23
; %bb.8:
	s_load_dwordx4 s[16:19], s[4:5], 0x0
	s_mov_b32 s4, 0
	s_lshl_b32 s26, s9, 6
	s_mov_b32 s27, s4
	s_lshl_b64 s[26:27], s[26:27], 2
	s_waitcnt lgkmcnt(0)
	s_add_u32 s15, s18, s26
	s_mul_i32 s20, s20, s0
	s_addc_u32 s22, s19, s27
	s_mul_i32 s21, s21, s2
	s_add_i32 s0, s23, s20
	s_mul_i32 s0, s0, s1
	s_add_i32 s1, s24, s21
	s_add_i32 s1, s1, s0
	v_lshl_or_b32 v1, s1, 9, v0
	v_ashrrev_i32_e32 v2, 31, v1
	v_lshlrev_b64 v[1:2], 2, v[1:2]
	v_mov_b32_e32 v3, s17
	v_add_co_u32_e32 v1, vcc, s16, v1
	v_addc_co_u32_e32 v2, vcc, v3, v2, vcc
	global_load_dword v3, v[1:2], off
	s_add_i32 s0, s7, s6
	v_cvt_f32_u32_e32 v4, s9
	s_lshl_b32 s0, s0, 4
	s_add_i32 s0, s0, s8
	s_ashr_i32 s1, s0, 31
	s_lshl_b64 s[0:1], s[0:1], 3
	v_rcp_iflag_f32_e32 v4, v4
	s_add_u32 s0, s18, s0
	s_addc_u32 s1, s19, s1
	s_load_dwordx2 s[0:1], s[0:1], 0x0
	v_mul_f32_e32 v4, 0x4f7ffffe, v4
	v_cvt_u32_f32_e32 v4, v4
	s_add_i32 s25, s6, -1
	v_lshl_or_b32 v0, s8, 9, v0
	s_waitcnt lgkmcnt(0)
	v_mov_b32_e32 v6, s1
	v_mov_b32_e32 v7, s0
	s_mov_b32 s2, 0x3fb8aa3b
	s_mov_b32 s6, 0xc2ce8ed0
	;; [unrolled: 1-line block ×4, first 2 shown]
	v_mov_b32_e32 v5, 0x7f800000
	s_mul_hi_i32 s5, s25, s3
	s_cmp_lg_u64 s[4:5], 0
	s_mul_i32 s20, s25, s3
	s_cbranch_scc0 .LBB8_19
.LBB8_9:
	s_add_u32 s0, s9, 0
	s_addc_u32 s1, 0, 0
	s_xor_b64 s[0:1], s[0:1], 0
	v_cvt_f32_u32_e32 v8, s0
	v_cvt_f32_u32_e32 v9, s1
	s_sub_u32 s21, 0, s0
	s_subb_u32 s26, 0, s1
	v_mac_f32_e32 v8, 0x4f800000, v9
	v_rcp_f32_e32 v8, v8
	v_mul_f32_e32 v8, 0x5f7ffffc, v8
	v_mul_f32_e32 v9, 0x2f800000, v8
	v_trunc_f32_e32 v9, v9
	v_mac_f32_e32 v8, 0xcf800000, v9
	v_cvt_u32_f32_e32 v9, v9
	v_cvt_u32_f32_e32 v8, v8
	v_readfirstlane_b32 s27, v9
	v_readfirstlane_b32 s16, v8
	s_mul_i32 s17, s21, s27
	s_mul_hi_u32 s29, s21, s16
	s_mul_i32 s28, s26, s16
	s_add_i32 s17, s29, s17
	s_mul_i32 s30, s21, s16
	s_add_i32 s17, s17, s28
	s_mul_i32 s29, s16, s17
	s_mul_hi_u32 s31, s16, s30
	s_mul_hi_u32 s28, s16, s17
	s_add_u32 s29, s31, s29
	s_addc_u32 s28, 0, s28
	s_mul_hi_u32 s33, s27, s30
	s_mul_i32 s30, s27, s30
	s_add_u32 s29, s29, s30
	s_mul_hi_u32 s31, s27, s17
	s_addc_u32 s28, s28, s33
	s_addc_u32 s29, s31, 0
	s_mul_i32 s17, s27, s17
	s_add_u32 s17, s28, s17
	s_addc_u32 s28, 0, s29
	s_add_u32 s29, s16, s17
	s_cselect_b64 s[16:17], -1, 0
	s_cmp_lg_u64 s[16:17], 0
	s_addc_u32 s27, s27, s28
	s_mul_i32 s16, s21, s27
	s_mul_hi_u32 s17, s21, s29
	s_add_i32 s16, s17, s16
	s_mul_i32 s26, s26, s29
	s_add_i32 s16, s16, s26
	s_mul_i32 s21, s21, s29
	s_mul_hi_u32 s26, s27, s21
	s_mul_i32 s28, s27, s21
	s_mul_i32 s31, s29, s16
	s_mul_hi_u32 s21, s29, s21
	s_mul_hi_u32 s30, s29, s16
	s_add_u32 s21, s21, s31
	s_addc_u32 s30, 0, s30
	s_add_u32 s21, s21, s28
	s_mul_hi_u32 s17, s27, s16
	s_addc_u32 s21, s30, s26
	s_addc_u32 s17, s17, 0
	s_mul_i32 s16, s27, s16
	s_add_u32 s16, s21, s16
	s_addc_u32 s21, 0, s17
	s_add_u32 s28, s29, s16
	s_cselect_b64 s[16:17], -1, 0
	s_cmp_lg_u64 s[16:17], 0
	s_addc_u32 s21, s27, s21
	s_ashr_i32 s16, s5, 31
	s_add_u32 s26, s20, s16
	s_mov_b32 s17, s16
	s_addc_u32 s27, s5, s16
	s_xor_b64 s[26:27], s[26:27], s[16:17]
	s_mul_i32 s29, s26, s21
	s_mul_hi_u32 s30, s26, s28
	s_mul_hi_u32 s5, s26, s21
	s_add_u32 s29, s30, s29
	s_addc_u32 s5, 0, s5
	s_mul_hi_u32 s31, s27, s28
	s_mul_i32 s28, s27, s28
	s_add_u32 s28, s29, s28
	s_mul_hi_u32 s30, s27, s21
	s_addc_u32 s5, s5, s31
	s_addc_u32 s28, s30, 0
	s_mul_i32 s21, s27, s21
	s_add_u32 s5, s5, s21
	s_addc_u32 s21, 0, s28
	s_mul_i32 s28, s0, s21
	s_mul_hi_u32 s29, s0, s5
	s_add_i32 s28, s29, s28
	s_mul_i32 s29, s1, s5
	s_add_i32 s33, s28, s29
	s_sub_i32 s30, s27, s33
	s_mul_i32 s28, s0, s5
	s_sub_u32 s26, s26, s28
	s_cselect_b64 s[28:29], -1, 0
	s_cmp_lg_u64 s[28:29], 0
	s_subb_u32 s34, s30, s1
	s_sub_u32 s35, s26, s0
	s_cselect_b64 s[30:31], -1, 0
	s_cmp_lg_u64 s[30:31], 0
	s_subb_u32 s30, s34, 0
	s_cmp_ge_u32 s30, s1
	s_cselect_b32 s31, -1, 0
	s_cmp_ge_u32 s35, s0
	s_cselect_b32 s34, -1, 0
	s_cmp_eq_u32 s30, s1
	s_cselect_b32 s30, s34, s31
	s_add_u32 s31, s5, 1
	s_addc_u32 s34, s21, 0
	s_add_u32 s35, s5, 2
	s_addc_u32 s36, s21, 0
	s_cmp_lg_u32 s30, 0
	s_cselect_b32 s30, s35, s31
	s_cselect_b32 s31, s36, s34
	s_cmp_lg_u64 s[28:29], 0
	s_subb_u32 s27, s27, s33
	s_cmp_ge_u32 s27, s1
	s_cselect_b32 s28, -1, 0
	s_cmp_ge_u32 s26, s0
	s_cselect_b32 s0, -1, 0
	s_cmp_eq_u32 s27, s1
	s_cselect_b32 s0, s0, s28
	s_cmp_lg_u32 s0, 0
	s_cselect_b32 s1, s31, s21
	s_cselect_b32 s0, s30, s5
	s_xor_b64 s[16:17], s[16:17], 0
	s_xor_b64 s[0:1], s[0:1], s[16:17]
	s_sub_u32 s16, s0, s16
	s_cbranch_execnz .LBB8_11
.LBB8_10:
	s_sub_i32 s0, 0, s9
	v_readfirstlane_b32 s1, v4
	s_mul_i32 s0, s0, s1
	s_mul_hi_u32 s0, s1, s0
	s_add_i32 s1, s1, s0
	s_mul_hi_u32 s0, s20, s1
	s_mul_i32 s5, s0, s9
	s_sub_i32 s5, s20, s5
	s_add_i32 s1, s0, 1
	s_sub_i32 s16, s5, s9
	s_cmp_ge_u32 s5, s9
	s_cselect_b32 s0, s1, s0
	s_cselect_b32 s5, s16, s5
	s_add_i32 s1, s0, 1
	s_cmp_ge_u32 s5, s9
	s_cselect_b32 s16, s1, s0
.LBB8_11:
	s_cmp_lg_u32 s10, s16
	s_mov_b64 s[20:21], -1
                                        ; implicit-def: $sgpr0_sgpr1
                                        ; implicit-def: $vgpr10
                                        ; implicit-def: $vgpr8
                                        ; implicit-def: $vgpr9
                                        ; implicit-def: $sgpr5
                                        ; implicit-def: $sgpr17
	s_cbranch_scc1 .LBB8_14
; %bb.12:
	s_andn2_b64 vcc, exec, s[20:21]
	s_cbranch_vccz .LBB8_17
.LBB8_13:
	s_andn2_b64 vcc, exec, s[0:1]
	s_cbranch_vccnz .LBB8_18
	s_branch .LBB8_22
.LBB8_14:
	s_add_i32 s26, s25, s7
	s_add_i32 s0, s26, s9
	s_lshl_b32 s0, s0, 4
	s_add_i32 s0, s0, s8
	s_mov_b32 s1, s4
	s_lshl_b64 s[0:1], s[0:1], 3
	s_add_u32 s20, s18, s0
	s_mul_hi_u32 s0, s16, s12
	s_addc_u32 s21, s19, s1
	s_add_i32 s0, s0, s16
	s_lshr_b32 s5, s0, s13
	s_mul_i32 s0, s5, s14
	s_cmp_eq_u32 s0, s16
	s_cselect_b64 s[0:1], -1, 0
	s_cmp_lt_u32 s5, s11
	s_cselect_b64 s[28:29], -1, 0
	s_or_b64 s[28:29], s[28:29], s[0:1]
	s_mov_b64 s[0:1], -1
	s_and_b64 vcc, exec, s[28:29]
	s_mov_b32 s5, s25
	s_mov_b32 s17, s10
	s_cbranch_vccnz .LBB8_16
; %bb.15:
	s_add_i32 s5, s25, -1
	s_mov_b64 s[0:1], 0
	s_mov_b32 s17, s16
.LBB8_16:
	v_lshl_add_u32 v8, s26, 13, v0
	v_ashrrev_i32_e32 v9, 31, v8
	v_lshlrev_b64 v[8:9], 2, v[8:9]
	v_mov_b32_e32 v10, s22
	v_add_co_u32_e32 v8, vcc, s15, v8
	v_addc_co_u32_e32 v9, vcc, v10, v9, vcc
	global_load_dword v10, v[8:9], off
	s_load_dwordx2 s[20:21], s[20:21], 0x0
	v_max_f32_e32 v8, v7, v7
	s_waitcnt lgkmcnt(0)
	v_max_f32_e64 v9, s20, s20
	v_max_f32_e32 v8, v8, v9
	v_sub_f32_e32 v9, v7, v8
	v_sub_f32_e32 v11, s20, v8
	v_mul_f32_e32 v12, 0x3fb8aa3b, v9
	v_mul_f32_e32 v13, 0x3fb8aa3b, v11
	v_fma_f32 v14, v9, s2, -v12
	v_rndne_f32_e32 v15, v12
	v_fma_f32 v16, v11, s2, -v13
	v_rndne_f32_e32 v17, v13
	v_fmac_f32_e32 v14, 0x32a5705f, v9
	v_sub_f32_e32 v12, v12, v15
	v_fmac_f32_e32 v16, 0x32a5705f, v11
	v_sub_f32_e32 v13, v13, v17
	v_add_f32_e32 v12, v12, v14
	v_cvt_i32_f32_e32 v15, v15
	v_add_f32_e32 v13, v13, v16
	v_exp_f32_e32 v12, v12
	v_cvt_i32_f32_e32 v17, v17
	v_exp_f32_e32 v13, v13
	v_cmp_ngt_f32_e32 vcc, s6, v9
	v_ldexp_f32 v12, v12, v15
	v_cndmask_b32_e32 v12, 0, v12, vcc
	v_ldexp_f32 v13, v13, v17
	v_cmp_ngt_f32_e32 vcc, s6, v11
	v_cndmask_b32_e32 v13, 0, v13, vcc
	v_cmp_nlt_f32_e32 vcc, s23, v9
	v_cndmask_b32_e32 v12, v5, v12, vcc
	v_cmp_nlt_f32_e32 vcc, s23, v11
	v_cndmask_b32_e32 v13, v5, v13, vcc
	v_cmp_le_f32_e32 vcc, s24, v9
	v_cndmask_b32_e32 v12, 0, v12, vcc
	v_cmp_le_f32_e32 vcc, s24, v11
	v_cndmask_b32_e32 v11, 0, v13, vcc
	v_mul_f32_e32 v9, s21, v11
	v_fmac_f32_e32 v9, v6, v12
	s_waitcnt vmcnt(0)
	v_mul_f32_e32 v10, v10, v11
	v_fmac_f32_e32 v10, v3, v12
	s_cbranch_execnz .LBB8_13
.LBB8_17:
	s_add_i32 s5, s25, -1
	s_mov_b32 s17, s10
	v_mov_b32_e32 v9, v6
	v_mov_b32_e32 v8, v7
	s_waitcnt vmcnt(0)
	v_mov_b32_e32 v10, v3
	s_cbranch_execz .LBB8_22
.LBB8_18:
	s_mov_b32 s10, s17
	s_mov_b32 s25, s5
	v_mov_b32_e32 v6, v9
	v_mov_b32_e32 v7, v8
	s_waitcnt vmcnt(0)
	v_mov_b32_e32 v3, v10
	s_mul_hi_i32 s5, s25, s3
	s_cmp_lg_u64 s[4:5], 0
	s_mul_i32 s20, s25, s3
	s_cbranch_scc1 .LBB8_9
.LBB8_19:
                                        ; implicit-def: $sgpr16_sgpr17
	s_branch .LBB8_10
.LBB8_20:
                                        ; implicit-def: $sgpr10_sgpr11
	s_load_dwordx4 s[12:15], s[4:5], 0x44
	s_branch .LBB8_2
.LBB8_21:
                                        ; implicit-def: $sgpr18_sgpr19
	s_branch .LBB8_5
.LBB8_22:
	v_div_scale_f32 v0, s[0:1], v9, v9, v10
	s_waitcnt vmcnt(0)
	v_div_scale_f32 v3, vcc, v10, v9, v10
	v_rcp_f32_e32 v4, v0
	v_fma_f32 v5, -v0, v4, 1.0
	v_fmac_f32_e32 v4, v5, v4
	v_mul_f32_e32 v5, v3, v4
	v_fma_f32 v6, -v0, v5, v3
	v_fmac_f32_e32 v5, v6, v4
	v_fma_f32 v0, -v0, v5, v3
	v_div_fmas_f32 v0, v0, v4, v5
	v_div_fixup_f32 v0, v0, v9, v10
	global_store_dword v[1:2], v0, off
.LBB8_23:
	s_endpgm
	.section	.rodata,"a",@progbits
	.p2align	6, 0x0
	.amdhsa_kernel _ZL33flash_attn_stream_k_fixup_generalILi512ELi1ELi16EEvPfPK15HIP_vector_typeIfLj2EEiiiiS1_IjLj3EES5_S5_S5_
		.amdhsa_group_segment_fixed_size 0
		.amdhsa_private_segment_fixed_size 0
		.amdhsa_kernarg_size 336
		.amdhsa_user_sgpr_count 6
		.amdhsa_user_sgpr_private_segment_buffer 1
		.amdhsa_user_sgpr_dispatch_ptr 0
		.amdhsa_user_sgpr_queue_ptr 0
		.amdhsa_user_sgpr_kernarg_segment_ptr 1
		.amdhsa_user_sgpr_dispatch_id 0
		.amdhsa_user_sgpr_flat_scratch_init 0
		.amdhsa_user_sgpr_private_segment_size 0
		.amdhsa_uses_dynamic_stack 0
		.amdhsa_system_sgpr_private_segment_wavefront_offset 0
		.amdhsa_system_sgpr_workgroup_id_x 1
		.amdhsa_system_sgpr_workgroup_id_y 1
		.amdhsa_system_sgpr_workgroup_id_z 1
		.amdhsa_system_sgpr_workgroup_info 0
		.amdhsa_system_vgpr_workitem_id 0
		.amdhsa_next_free_vgpr 18
		.amdhsa_next_free_sgpr 37
		.amdhsa_reserve_vcc 1
		.amdhsa_reserve_flat_scratch 0
		.amdhsa_float_round_mode_32 0
		.amdhsa_float_round_mode_16_64 0
		.amdhsa_float_denorm_mode_32 3
		.amdhsa_float_denorm_mode_16_64 3
		.amdhsa_dx10_clamp 1
		.amdhsa_ieee_mode 1
		.amdhsa_fp16_overflow 0
		.amdhsa_exception_fp_ieee_invalid_op 0
		.amdhsa_exception_fp_denorm_src 0
		.amdhsa_exception_fp_ieee_div_zero 0
		.amdhsa_exception_fp_ieee_overflow 0
		.amdhsa_exception_fp_ieee_underflow 0
		.amdhsa_exception_fp_ieee_inexact 0
		.amdhsa_exception_int_div_zero 0
	.end_amdhsa_kernel
	.section	.text._ZL33flash_attn_stream_k_fixup_generalILi512ELi1ELi16EEvPfPK15HIP_vector_typeIfLj2EEiiiiS1_IjLj3EES5_S5_S5_,"axG",@progbits,_ZL33flash_attn_stream_k_fixup_generalILi512ELi1ELi16EEvPfPK15HIP_vector_typeIfLj2EEiiiiS1_IjLj3EES5_S5_S5_,comdat
.Lfunc_end8:
	.size	_ZL33flash_attn_stream_k_fixup_generalILi512ELi1ELi16EEvPfPK15HIP_vector_typeIfLj2EEiiiiS1_IjLj3EES5_S5_S5_, .Lfunc_end8-_ZL33flash_attn_stream_k_fixup_generalILi512ELi1ELi16EEvPfPK15HIP_vector_typeIfLj2EEiiiiS1_IjLj3EES5_S5_S5_
                                        ; -- End function
	.set _ZL33flash_attn_stream_k_fixup_generalILi512ELi1ELi16EEvPfPK15HIP_vector_typeIfLj2EEiiiiS1_IjLj3EES5_S5_S5_.num_vgpr, 18
	.set _ZL33flash_attn_stream_k_fixup_generalILi512ELi1ELi16EEvPfPK15HIP_vector_typeIfLj2EEiiiiS1_IjLj3EES5_S5_S5_.num_agpr, 0
	.set _ZL33flash_attn_stream_k_fixup_generalILi512ELi1ELi16EEvPfPK15HIP_vector_typeIfLj2EEiiiiS1_IjLj3EES5_S5_S5_.numbered_sgpr, 37
	.set _ZL33flash_attn_stream_k_fixup_generalILi512ELi1ELi16EEvPfPK15HIP_vector_typeIfLj2EEiiiiS1_IjLj3EES5_S5_S5_.num_named_barrier, 0
	.set _ZL33flash_attn_stream_k_fixup_generalILi512ELi1ELi16EEvPfPK15HIP_vector_typeIfLj2EEiiiiS1_IjLj3EES5_S5_S5_.private_seg_size, 0
	.set _ZL33flash_attn_stream_k_fixup_generalILi512ELi1ELi16EEvPfPK15HIP_vector_typeIfLj2EEiiiiS1_IjLj3EES5_S5_S5_.uses_vcc, 1
	.set _ZL33flash_attn_stream_k_fixup_generalILi512ELi1ELi16EEvPfPK15HIP_vector_typeIfLj2EEiiiiS1_IjLj3EES5_S5_S5_.uses_flat_scratch, 0
	.set _ZL33flash_attn_stream_k_fixup_generalILi512ELi1ELi16EEvPfPK15HIP_vector_typeIfLj2EEiiiiS1_IjLj3EES5_S5_S5_.has_dyn_sized_stack, 0
	.set _ZL33flash_attn_stream_k_fixup_generalILi512ELi1ELi16EEvPfPK15HIP_vector_typeIfLj2EEiiiiS1_IjLj3EES5_S5_S5_.has_recursion, 0
	.set _ZL33flash_attn_stream_k_fixup_generalILi512ELi1ELi16EEvPfPK15HIP_vector_typeIfLj2EEiiiiS1_IjLj3EES5_S5_S5_.has_indirect_call, 0
	.section	.AMDGPU.csdata,"",@progbits
; Kernel info:
; codeLenInByte = 2920
; TotalNumSgprs: 41
; NumVgprs: 18
; ScratchSize: 0
; MemoryBound: 0
; FloatMode: 240
; IeeeMode: 1
; LDSByteSize: 0 bytes/workgroup (compile time only)
; SGPRBlocks: 5
; VGPRBlocks: 4
; NumSGPRsForWavesPerEU: 41
; NumVGPRsForWavesPerEU: 18
; Occupancy: 10
; WaveLimiterHint : 0
; COMPUTE_PGM_RSRC2:SCRATCH_EN: 0
; COMPUTE_PGM_RSRC2:USER_SGPR: 6
; COMPUTE_PGM_RSRC2:TRAP_HANDLER: 0
; COMPUTE_PGM_RSRC2:TGID_X_EN: 1
; COMPUTE_PGM_RSRC2:TGID_Y_EN: 1
; COMPUTE_PGM_RSRC2:TGID_Z_EN: 1
; COMPUTE_PGM_RSRC2:TIDIG_COMP_CNT: 0
	.section	.text._ZL15flash_attn_tileILi576ELi512ELi8ELi4ELb0EEvPKcS1_S1_S1_S1_PKiPfP15HIP_vector_typeIfLj2EEffffjfiS5_IjLj3EEiiiiiiiiiiiliiliiiiil,"axG",@progbits,_ZL15flash_attn_tileILi576ELi512ELi8ELi4ELb0EEvPKcS1_S1_S1_S1_PKiPfP15HIP_vector_typeIfLj2EEffffjfiS5_IjLj3EEiiiiiiiiiiiliiliiiiil,comdat
	.globl	_ZL15flash_attn_tileILi576ELi512ELi8ELi4ELb0EEvPKcS1_S1_S1_S1_PKiPfP15HIP_vector_typeIfLj2EEffffjfiS5_IjLj3EEiiiiiiiiiiiliiliiiiil ; -- Begin function _ZL15flash_attn_tileILi576ELi512ELi8ELi4ELb0EEvPKcS1_S1_S1_S1_PKiPfP15HIP_vector_typeIfLj2EEffffjfiS5_IjLj3EEiiiiiiiiiiiliiliiiiil
	.p2align	8
	.type	_ZL15flash_attn_tileILi576ELi512ELi8ELi4ELb0EEvPKcS1_S1_S1_S1_PKiPfP15HIP_vector_typeIfLj2EEffffjfiS5_IjLj3EEiiiiiiiiiiiliiliiiiil,@function
_ZL15flash_attn_tileILi576ELi512ELi8ELi4ELb0EEvPKcS1_S1_S1_S1_PKiPfP15HIP_vector_typeIfLj2EEffffjfiS5_IjLj3EEiiiiiiiiiiiliiliiiiil: ; @_ZL15flash_attn_tileILi576ELi512ELi8ELi4ELb0EEvPKcS1_S1_S1_S1_PKiPfP15HIP_vector_typeIfLj2EEffffjfiS5_IjLj3EEiiiiiiiiiiiliiliiiiil
; %bb.0:
	s_load_dwordx4 s[0:3], s[4:5], 0x5c
	s_load_dwordx2 s[24:25], s[4:5], 0x80
	s_load_dwordx2 s[28:29], s[4:5], 0xb8
	s_mov_b64 s[26:27], 0
	s_waitcnt lgkmcnt(0)
	s_ashr_i32 s9, s3, 31
	s_lshr_b32 s9, s9, 30
	s_add_i32 s9, s3, s9
	s_ashr_i32 s9, s9, 2
	v_cvt_f32_u32_e32 v2, s9
	s_sub_i32 s10, 0, s9
	v_rcp_iflag_f32_e32 v2, v2
	v_mul_f32_e32 v2, 0x4f7ffffe, v2
	v_cvt_u32_f32_e32 v2, v2
	v_readfirstlane_b32 s11, v2
	s_mul_i32 s10, s10, s11
	s_mul_hi_u32 s10, s11, s10
	s_add_i32 s11, s11, s10
	s_mul_hi_u32 s10, s8, s11
	s_mul_i32 s11, s10, s9
	s_sub_i32 s11, s8, s11
	s_add_i32 s12, s10, 1
	s_sub_i32 s13, s11, s9
	s_cmp_ge_u32 s11, s9
	s_cselect_b32 s10, s12, s10
	s_cselect_b32 s11, s13, s11
	s_add_i32 s12, s10, 1
	s_cmp_ge_u32 s11, s9
	s_cselect_b32 s30, s12, s10
	s_abs_i32 s9, s25
	v_cvt_f32_u32_e32 v2, s9
	s_lshl_b32 s8, s8, 2
	s_mul_i32 s12, s30, s3
	s_xor_b32 s10, s3, s25
	v_rcp_iflag_f32_e32 v2, v2
	s_sub_i32 s13, 0, s9
	s_sub_i32 s25, s8, s12
	s_abs_i32 s11, s3
	v_mul_f32_e32 v2, 0x4f7ffffe, v2
	v_cvt_u32_f32_e32 v2, v2
	s_ashr_i32 s10, s10, 31
	v_readfirstlane_b32 s8, v2
	s_mul_i32 s13, s13, s8
	s_mul_hi_u32 s12, s8, s13
	s_add_i32 s8, s8, s12
	s_mul_hi_u32 s8, s11, s8
	s_mul_i32 s12, s8, s9
	s_sub_i32 s11, s11, s12
	s_add_i32 s13, s8, 1
	s_sub_i32 s12, s11, s9
	s_cmp_ge_u32 s11, s9
	s_cselect_b32 s8, s13, s8
	s_cselect_b32 s11, s12, s11
	s_add_i32 s12, s8, 1
	s_cmp_ge_u32 s11, s9
	s_cselect_b32 s8, s12, s8
	s_xor_b32 s8, s8, s10
	s_sub_i32 s33, s8, s10
	s_abs_i32 s31, s33
	v_cvt_f32_u32_e32 v2, s31
	s_load_dwordx16 s[8:23], s[4:5], 0x0
	v_rcp_iflag_f32_e32 v2, v2
	s_waitcnt lgkmcnt(0)
	s_cmp_eq_u64 s[14:15], 0
	v_mul_f32_e32 v2, 0x4f7ffffe, v2
	v_cvt_u32_f32_e32 v2, v2
	v_readfirstlane_b32 s34, v2
	s_cbranch_scc1 .LBB9_2
; %bb.1:
	s_abs_i32 s28, s28
	v_cvt_f32_u32_e32 v2, s28
	s_sub_i32 s37, 0, s28
	s_abs_i32 s36, s30
	s_ashr_i32 s35, s30, 31
	v_rcp_iflag_f32_e32 v2, v2
	s_load_dwordx2 s[26:27], s[4:5], 0xc8
	v_mul_f32_e32 v2, 0x4f7ffffe, v2
	v_cvt_u32_f32_e32 v2, v2
	v_readfirstlane_b32 s38, v2
	s_mul_i32 s37, s37, s38
	s_mul_hi_u32 s37, s38, s37
	s_add_i32 s38, s38, s37
	s_mul_hi_u32 s37, s36, s38
	s_mul_i32 s37, s37, s28
	s_sub_i32 s36, s36, s37
	s_sub_i32 s37, s36, s28
	s_cmp_ge_u32 s36, s28
	s_cselect_b32 s36, s37, s36
	s_sub_i32 s37, s36, s28
	s_cmp_ge_u32 s36, s28
	s_cselect_b32 s28, s37, s36
	s_xor_b32 s28, s28, s35
	s_sub_i32 s28, s28, s35
	s_ashr_i32 s35, s28, 31
	s_waitcnt lgkmcnt(0)
	s_mul_hi_u32 s36, s26, s28
	s_mul_i32 s35, s26, s35
	s_mul_i32 s27, s27, s28
	s_add_i32 s35, s36, s35
	s_add_i32 s35, s35, s27
	s_mul_i32 s26, s26, s28
	s_add_u32 s26, s14, s26
	s_addc_u32 s27, s15, s35
.LBB9_2:
	v_lshrrev_b32_e32 v2, 1, v1
	s_load_dwordx4 s[36:39], s[4:5], 0x70
	v_lshl_add_u32 v20, s6, 3, v2
	v_mul_hi_u32 v2, s0, v20
	v_lshlrev_b32_e32 v5, 1, v1
	v_and_b32_e32 v21, 2, v5
	s_waitcnt lgkmcnt(0)
	s_mul_i32 s0, s30, s38
	v_add_u32_e32 v2, v20, v2
	s_ashr_i32 s15, s0, 31
	v_lshrrev_b32_e32 v2, s1, v2
	s_mul_i32 s14, s25, s37
	s_add_u32 s0, s8, s0
	v_mul_lo_u32 v2, v2, s2
	s_addc_u32 s8, s9, s15
	s_ashr_i32 s9, s14, 31
	s_add_u32 s14, s0, s14
	s_addc_u32 s15, s8, s9
	s_ashr_i32 s9, s37, 31
	s_mov_b32 s8, s37
	s_ashr_i32 s37, s36, 31
	v_sub_u32_e32 v4, v20, v2
	s_lshr_b64 s[0:1], s[36:37], 2
	v_mad_u64_u32 v[2:3], s[0:1], s0, v4, 0
	s_lshr_b32 s0, s37, 2
	v_lshlrev_b32_e32 v8, 4, v0
	v_mad_u64_u32 v[6:7], s[0:1], s0, v4, v[3:4]
	s_lshr_b64 s[0:1], s[8:9], 2
	s_lshr_b32 s8, s9, 2
	v_mov_b32_e32 v3, v6
	v_lshlrev_b64 v[2:3], 2, v[2:3]
	v_mov_b32_e32 v6, s15
	v_add_co_u32_e32 v7, vcc, s14, v2
	v_addc_co_u32_e32 v6, vcc, v6, v3, vcc
	v_mul_lo_u32 v9, s8, v21
	v_mad_u64_u32 v[2:3], s[8:9], s0, v21, 0
	v_add_co_u32_e32 v7, vcc, v7, v8
	v_or_b32_e32 v3, v3, v9
	v_lshlrev_b64 v[2:3], 2, v[2:3]
	v_addc_co_u32_e32 v8, vcc, 0, v6, vcc
	v_add_co_u32_e32 v2, vcc, v7, v2
	v_addc_co_u32_e32 v3, vcc, v8, v3, vcc
	global_load_dwordx4 v[9:12], v[2:3], off
	global_load_dwordx4 v[13:16], v[2:3], off offset:512
	global_load_dwordx4 v[24:27], v[2:3], off offset:1024
	;; [unrolled: 1-line block ×3, first 2 shown]
	s_load_dword s14, s[4:5], 0x40
	v_lshlrev_b32_e32 v6, 3, v0
	s_movk_i32 s8, 0x900
	v_mul_u32_u24_e32 v23, 0x900, v1
	v_mad_u32_u24 v17, v1, s8, v6
	v_cmp_gt_u32_e32 vcc, 16, v0
	s_waitcnt vmcnt(3) lgkmcnt(0)
	v_fma_mixlo_f16 v9, s14, v9, 0
	v_fma_mixlo_f16 v10, s14, v10, 0
	;; [unrolled: 1-line block ×4, first 2 shown]
	s_waitcnt vmcnt(2)
	v_fma_mixlo_f16 v13, s14, v13, 0
	v_fma_mixlo_f16 v14, s14, v14, 0
	;; [unrolled: 1-line block ×4, first 2 shown]
	s_waitcnt vmcnt(1)
	v_fma_mixlo_f16 v18, s14, v24, 0
	v_fma_mixlo_f16 v19, s14, v25, 0
	;; [unrolled: 1-line block ×3, first 2 shown]
	s_waitcnt vmcnt(0)
	v_fma_mixlo_f16 v25, s14, v28, 0
	v_fma_mixlo_f16 v26, s14, v29, 0
	v_lshlrev_b32_e32 v10, 16, v10
	v_and_b32_e32 v9, 0xffff, v9
	v_lshlrev_b32_e32 v12, 16, v12
	v_and_b32_e32 v11, 0xffff, v11
	;; [unrolled: 2-line block ×3, first 2 shown]
	v_fma_mixlo_f16 v24, s14, v27, 0
	v_fma_mixlo_f16 v27, s14, v30, 0
	;; [unrolled: 1-line block ×3, first 2 shown]
	v_lshlrev_b32_e32 v16, 16, v16
	v_and_b32_e32 v15, 0xffff, v15
	v_lshlrev_b32_e32 v19, 16, v19
	v_and_b32_e32 v18, 0xffff, v18
	;; [unrolled: 2-line block ×3, first 2 shown]
	v_or_b32_e32 v9, v10, v9
	v_or3_b32 v10, v12, v11, 0
	v_or_b32_e32 v11, v14, v13
	v_lshlrev_b32_e32 v24, 16, v24
	v_and_b32_e32 v22, 0xffff, v22
	v_lshlrev_b32_e32 v28, 16, v28
	v_and_b32_e32 v27, 0xffff, v27
	v_or3_b32 v12, v16, v15, 0
	v_or_b32_e32 v13, v19, v18
	v_or_b32_e32 v15, v26, v25
	v_or3_b32 v9, 0, 0, v9
	v_or3_b32 v11, 0, 0, v11
	;; [unrolled: 1-line block ×6, first 2 shown]
	ds_write2_b64 v17, v[9:10], v[11:12] offset1:32
	ds_write2_b64 v17, v[13:14], v[15:16] offset0:64 offset1:96
	s_and_saveexec_b64 s[8:9], vcc
	s_cbranch_execz .LBB9_4
; %bb.3:
	global_load_dwordx4 v[9:12], v[2:3], off offset:2048
	s_waitcnt vmcnt(0)
	v_fma_mixlo_f16 v2, s14, v9, 0
	v_fma_mixlo_f16 v3, s14, v10, 0
	;; [unrolled: 1-line block ×4, first 2 shown]
	v_lshlrev_b32_e32 v3, 16, v3
	v_and_b32_e32 v2, 0xffff, v2
	v_lshlrev_b32_e32 v10, 16, v10
	v_and_b32_e32 v9, 0xffff, v9
	v_or_b32_e32 v2, v3, v2
	v_or3_b32 v3, v10, v9, 0
	v_or3_b32 v2, 0, 0, v2
	v_add_u32_e32 v9, v6, v23
	ds_write_b64 v9, v[2:3] offset:1024
.LBB9_4:
	s_or_b64 exec, exec, s[8:9]
	v_or_b32_e32 v5, 1, v5
	v_and_b32_e32 v9, 3, v5
	v_mad_u64_u32 v[2:3], s[8:9], s0, v9, 0
	v_mad_u64_u32 v[9:10], s[0:1], s1, v9, v[3:4]
	v_mov_b32_e32 v3, v9
	v_lshlrev_b64 v[2:3], 2, v[2:3]
	v_add_co_u32_e64 v2, s[0:1], v7, v2
	v_addc_co_u32_e64 v3, s[0:1], v8, v3, s[0:1]
	global_load_dwordx4 v[7:10], v[2:3], off
	global_load_dwordx4 v[11:14], v[2:3], off offset:512
	global_load_dwordx4 v[15:18], v[2:3], off offset:1024
	;; [unrolled: 1-line block ×3, first 2 shown]
	s_movk_i32 s0, 0x480
	v_mad_u32_u24 v19, v5, s0, v6
	s_waitcnt vmcnt(3)
	v_fma_mixlo_f16 v7, s14, v7, 0
	v_fma_mixlo_f16 v8, s14, v8, 0
	;; [unrolled: 1-line block ×4, first 2 shown]
	s_waitcnt vmcnt(2)
	v_fma_mixlo_f16 v11, s14, v11, 0
	v_fma_mixlo_f16 v12, s14, v12, 0
	;; [unrolled: 1-line block ×4, first 2 shown]
	s_waitcnt vmcnt(1)
	v_fma_mixlo_f16 v15, s14, v15, 0
	v_fma_mixlo_f16 v16, s14, v16, 0
	s_waitcnt vmcnt(0)
	v_fma_mixlo_f16 v22, s14, v24, 0
	v_fma_mixlo_f16 v24, s14, v25, 0
	v_lshlrev_b32_e32 v8, 16, v8
	v_and_b32_e32 v7, 0xffff, v7
	v_lshlrev_b32_e32 v10, 16, v10
	v_and_b32_e32 v9, 0xffff, v9
	;; [unrolled: 2-line block ×3, first 2 shown]
	v_fma_mixlo_f16 v17, s14, v17, 0
	v_fma_mixlo_f16 v18, s14, v18, 0
	;; [unrolled: 1-line block ×4, first 2 shown]
	v_lshlrev_b32_e32 v14, 16, v14
	v_and_b32_e32 v13, 0xffff, v13
	v_lshlrev_b32_e32 v16, 16, v16
	v_and_b32_e32 v15, 0xffff, v15
	;; [unrolled: 2-line block ×3, first 2 shown]
	v_or_b32_e32 v7, v8, v7
	v_or3_b32 v8, v10, v9, 0
	v_or_b32_e32 v9, v12, v11
	v_lshlrev_b32_e32 v18, 16, v18
	v_and_b32_e32 v17, 0xffff, v17
	v_lshlrev_b32_e32 v26, 16, v26
	v_and_b32_e32 v25, 0xffff, v25
	v_or3_b32 v10, v14, v13, 0
	v_or_b32_e32 v11, v16, v15
	v_or_b32_e32 v13, v24, v22
	v_or3_b32 v7, 0, 0, v7
	v_or3_b32 v9, 0, 0, v9
	;; [unrolled: 1-line block ×6, first 2 shown]
	ds_write2_b64 v19, v[7:8], v[9:10] offset1:32
	ds_write2_b64 v19, v[11:12], v[13:14] offset0:64 offset1:96
	s_and_saveexec_b64 s[0:1], vcc
	s_cbranch_execz .LBB9_6
; %bb.5:
	global_load_dwordx4 v[7:10], v[2:3], off offset:2048
	v_mul_u32_u24_e32 v5, 0x480, v5
	v_add_u32_e32 v5, v6, v5
	s_waitcnt vmcnt(0)
	v_fma_mixlo_f16 v2, s14, v7, 0
	v_fma_mixlo_f16 v3, s14, v8, 0
	;; [unrolled: 1-line block ×4, first 2 shown]
	v_lshlrev_b32_e32 v3, 16, v3
	v_and_b32_e32 v2, 0xffff, v2
	v_lshlrev_b32_e32 v8, 16, v8
	v_and_b32_e32 v7, 0xffff, v7
	v_or_b32_e32 v2, v3, v2
	v_or3_b32 v3, v8, v7, 0
	v_or3_b32 v2, 0, 0, v2
	ds_write_b64 v5, v[2:3] offset:1024
.LBB9_6:
	s_or_b64 exec, exec, s[0:1]
	s_cmp_eq_u64 s[18:19], 0
	s_waitcnt lgkmcnt(0)
	s_barrier
	s_cbranch_scc1 .LBB9_8
; %bb.7:
	s_load_dword s0, s[4:5], 0xd0
	s_mov_b32 s1, 0
	s_waitcnt lgkmcnt(0)
	s_mul_i32 s0, s0, s30
	s_add_i32 s0, s0, s6
	s_lshl_b64 s[0:1], s[0:1], 2
	s_add_u32 s0, s18, s0
	s_addc_u32 s1, s19, s1
	s_load_dword s24, s[0:1], 0x0
.LBB9_8:
	s_lshl_b32 s6, s7, 7
	v_lshlrev_b32_e32 v22, 2, v0
	s_waitcnt lgkmcnt(0)
	s_cmp_lt_i32 s6, s24
	v_mbcnt_lo_u32_b32 v2, -1, 0
	s_cbranch_scc1 .LBB9_11
; %bb.9:
	v_mbcnt_hi_u32_b32 v24, -1, v2
	v_and_b32_e32 v3, 0x60, v24
	v_add_u32_e32 v25, 32, v3
	v_xor_b32_e32 v30, 16, v24
	v_xor_b32_e32 v29, 8, v24
	;; [unrolled: 1-line block ×5, first 2 shown]
	s_cbranch_execz .LBB9_12
; %bb.10:
	v_mov_b32_e32 v53, 0
	v_mov_b32_e32 v31, 0
	;; [unrolled: 1-line block ×20, first 2 shown]
	s_branch .LBB9_14
.LBB9_11:
                                        ; implicit-def: $vgpr24
                                        ; implicit-def: $vgpr25
                                        ; implicit-def: $vgpr30
                                        ; implicit-def: $vgpr29
                                        ; implicit-def: $vgpr28
                                        ; implicit-def: $vgpr27
                                        ; implicit-def: $vgpr26
.LBB9_12:
	s_sub_i32 s0, 0, s31
	s_mul_i32 s0, s0, s34
	s_mul_hi_u32 s0, s34, s0
	s_add_i32 s34, s34, s0
	s_load_dwordx2 s[0:1], s[4:5], 0x8c
	s_load_dwordx4 s[36:39], s[4:5], 0x98
	s_abs_i32 s18, s25
	s_mul_hi_u32 s19, s18, s34
	s_ashr_i32 s28, s25, 31
	s_waitcnt lgkmcnt(0)
	s_ashr_i32 s9, s0, 2
	s_ashr_i32 s0, s30, 31
	s_mul_hi_u32 s34, s36, s30
	s_mul_i32 s35, s36, s0
	s_add_i32 s34, s34, s35
	s_mul_i32 s35, s37, s30
	s_ashr_i32 s33, s33, 31
	s_ashr_i32 s8, s38, 2
	;; [unrolled: 1-line block ×3, first 2 shown]
	s_add_i32 s34, s34, s35
	s_mul_i32 s35, s36, s30
	s_add_u32 s10, s10, s35
	s_addc_u32 s11, s11, s34
	s_xor_b32 s28, s28, s33
	s_mul_i32 s33, s19, s31
	s_sub_i32 s18, s18, s33
	s_add_i32 s33, s19, 1
	s_sub_i32 s34, s18, s31
	s_cmp_ge_u32 s18, s31
	s_cselect_b32 s19, s33, s19
	s_cselect_b32 s18, s34, s18
	s_add_i32 s33, s19, 1
	s_cmp_ge_u32 s18, s31
	s_load_dwordx2 s[14:15], s[4:5], 0xa8
	s_cselect_b32 s18, s33, s19
	s_xor_b32 s18, s18, s28
	s_sub_i32 s18, s18, s28
	s_mul_i32 s1, s18, s1
	s_ashr_i32 s19, s1, 31
	s_add_u32 s10, s10, s1
	s_waitcnt lgkmcnt(0)
	s_mul_hi_u32 s1, s14, s30
	s_mul_i32 s0, s14, s0
	s_addc_u32 s11, s11, s19
	s_add_i32 s0, s1, s0
	s_mul_i32 s1, s15, s30
	s_add_i32 s0, s0, s1
	s_mul_i32 s1, s14, s30
	s_add_u32 s1, s12, s1
	s_mul_i32 s18, s18, s39
	s_addc_u32 s0, s13, s0
	s_ashr_i32 s12, s18, 31
	s_add_u32 s13, s1, s18
	v_lshrrev_b32_e32 v3, 3, v0
	v_and_b32_e32 v11, 28, v22
	s_addc_u32 s12, s0, s12
	v_lshl_add_u32 v3, v1, 2, v3
	v_lshlrev_b32_e32 v8, 2, v11
	s_movk_i32 s0, 0x90
	v_mul_lo_u32 v7, s9, v3
	v_mad_u32_u24 v3, v3, s0, v8
	v_add_u32_e32 v32, 0x9000, v3
	v_add_u32_e32 v33, 0xb400, v3
	v_mov_b32_e32 v3, 0x9000
	v_mad_u32_u24 v34, v0, s0, v3
	v_mov_b32_e32 v3, 0xd800
	v_lshl_add_u32 v35, v1, 9, v3
	v_mul_lo_u32 v3, s8, v1
	v_mad_u64_u32 v[13:14], s[0:1], v4, s29, v[0:1]
	v_lshl_add_u32 v9, s9, 6, v7
	v_ashrrev_i32_e32 v4, 31, v3
	v_lshlrev_b64 v[3:4], 2, v[3:4]
	v_lshlrev_b32_e32 v12, 2, v22
	v_mov_b32_e32 v14, s12
	v_add_co_u32_e32 v3, vcc, s13, v3
	v_ashrrev_i32_e32 v8, 31, v7
	v_ashrrev_i32_e32 v10, 31, v9
	v_lshl_add_u32 v1, v1, 10, v12
	v_addc_co_u32_e32 v4, vcc, v14, v4, vcc
	v_mbcnt_hi_u32_b32 v24, -1, v2
	v_add_u32_e32 v36, 0x9000, v1
	v_add_u32_e32 v37, 0x9200, v1
	v_or_b32_e32 v38, 0x9000, v6
	s_add_u32 s0, s4, 0xd0
	v_add_co_u32_e32 v39, vcc, v3, v12
	v_lshlrev_b64 v[14:15], 2, v[7:8]
	v_lshlrev_b64 v[16:17], 2, v[9:10]
	v_and_b32_e32 v1, 0x60, v24
	v_mov_b32_e32 v5, 0
	s_addc_u32 s1, s5, 0
	v_addc_co_u32_e32 v40, vcc, 0, v4, vcc
	v_mov_b32_e32 v18, 0xfeffffff
	v_lshlrev_b32_e32 v41, 2, v11
	v_add_u32_e32 v25, 32, v1
	v_xor_b32_e32 v30, 16, v24
	v_xor_b32_e32 v29, 8, v24
	v_xor_b32_e32 v28, 4, v24
	v_xor_b32_e32 v27, 2, v24
	v_xor_b32_e32 v26, 1, v24
	v_mov_b32_e32 v42, s27
	s_mov_b32 s12, 0x3fb8aa3b
	s_mov_b32 s13, 0xc2ce8ed0
	;; [unrolled: 1-line block ×3, first 2 shown]
	v_mov_b32_e32 v43, 0x7f800000
	s_mov_b32 s15, 0x10001
	v_add_u32_e32 v44, v35, v22
	v_add_u32_e32 v45, 0x800, v38
	;; [unrolled: 1-line block ×8, first 2 shown]
	v_mov_b32_e32 v7, 0
	v_mov_b32_e32 v9, 0
	;; [unrolled: 1-line block ×18, first 2 shown]
.LBB9_13:                               ; =>This Inner Loop Header: Depth=1
	s_mul_hi_i32 s19, s6, s9
	s_mul_i32 s18, s6, s9
	s_lshl_b64 s[18:19], s[18:19], 2
	s_add_u32 s18, s10, s18
	s_addc_u32 s19, s11, s19
	v_add_co_u32_e32 v1, vcc, s18, v14
	v_mov_b32_e32 v2, s19
	v_addc_co_u32_e32 v2, vcc, v2, v15, vcc
	v_add_co_u32_e32 v1, vcc, v1, v41
	v_addc_co_u32_e32 v2, vcc, 0, v2, vcc
	global_load_dwordx4 v[63:66], v[1:2], off
	v_add_co_u32_e32 v3, vcc, s18, v16
	v_mov_b32_e32 v4, s19
	v_addc_co_u32_e32 v4, vcc, v4, v17, vcc
	v_add_co_u32_e32 v3, vcc, v3, v41
	v_addc_co_u32_e32 v4, vcc, 0, v4, vcc
	v_mov_b32_e32 v62, v52
	v_mov_b32_e32 v52, v18
	;; [unrolled: 1-line block ×5, first 2 shown]
	v_cmp_lt_i32_e32 vcc, v30, v25
	s_mul_hi_i32 s19, s6, s8
	s_mul_i32 s18, s6, s8
	s_lshl_b64 s[18:19], s[18:19], 2
	s_waitcnt vmcnt(0)
	ds_write_b128 v32, v[63:66]
	global_load_dwordx4 v[63:66], v[3:4], off
	s_waitcnt vmcnt(0)
	ds_write_b128 v33, v[63:66]
	s_waitcnt lgkmcnt(0)
	s_barrier
	ds_read_b128 v[63:66], v34
	ds_read_b128 v[67:70], v34 offset:4608
	ds_read_b128 v[71:74], v34 offset:9216
	;; [unrolled: 1-line block ×3, first 2 shown]
	ds_read_b128 v[79:82], v23
	ds_read_b128 v[83:86], v23 offset:1152
	s_waitcnt lgkmcnt(1)
	;;#ASMSTART
	v_dot2_f32_f16 v18, v63, v79, v18
	;;#ASMEND
	;;#ASMSTART
	v_dot2_f32_f16 v18, v64, v80, v18
	;;#ASMEND
	;; [unrolled: 3-line block ×4, first 2 shown]
	s_waitcnt lgkmcnt(0)
	;;#ASMSTART
	v_dot2_f32_f16 v19, v63, v83, v19
	;;#ASMEND
	;;#ASMSTART
	v_dot2_f32_f16 v19, v64, v84, v19
	;;#ASMEND
	;;#ASMSTART
	v_dot2_f32_f16 v19, v65, v85, v19
	;;#ASMEND
	v_mov_b32_e32 v64, 0
	;;#ASMSTART
	v_dot2_f32_f16 v19, v66, v86, v19
	;;#ASMEND
	;;#ASMSTART
	v_dot2_f32_f16 v64, v67, v79, v64
	;;#ASMEND
	;;#ASMSTART
	v_dot2_f32_f16 v64, v68, v80, v64
	;;#ASMEND
	;;#ASMSTART
	v_dot2_f32_f16 v64, v69, v81, v64
	;;#ASMEND
	v_mov_b32_e32 v63, 0
	;;#ASMSTART
	v_dot2_f32_f16 v64, v70, v82, v64
	;;#ASMEND
	;;#ASMSTART
	v_dot2_f32_f16 v63, v67, v83, v63
	;;#ASMEND
	;;#ASMSTART
	v_dot2_f32_f16 v63, v68, v84, v63
	;;#ASMEND
	;;#ASMSTART
	v_dot2_f32_f16 v63, v69, v85, v63
	;;#ASMEND
	v_mov_b32_e32 v66, 0
	;;#ASMSTART
	v_dot2_f32_f16 v63, v70, v86, v63
	;;#ASMEND
	;;#ASMSTART
	v_dot2_f32_f16 v66, v71, v79, v66
	;;#ASMEND
	;;#ASMSTART
	v_dot2_f32_f16 v66, v72, v80, v66
	;;#ASMEND
	;;#ASMSTART
	v_dot2_f32_f16 v66, v73, v81, v66
	;;#ASMEND
	v_mov_b32_e32 v65, 0
	;;#ASMSTART
	v_dot2_f32_f16 v66, v74, v82, v66
	;;#ASMEND
	;;#ASMSTART
	v_dot2_f32_f16 v65, v71, v83, v65
	;;#ASMEND
	;;#ASMSTART
	v_dot2_f32_f16 v65, v72, v84, v65
	;;#ASMEND
	;;#ASMSTART
	v_dot2_f32_f16 v65, v73, v85, v65
	;;#ASMEND
	v_mov_b32_e32 v68, 0
	;;#ASMSTART
	v_dot2_f32_f16 v65, v74, v86, v65
	;;#ASMEND
	;;#ASMSTART
	v_dot2_f32_f16 v68, v75, v79, v68
	;;#ASMEND
	;;#ASMSTART
	v_dot2_f32_f16 v68, v76, v80, v68
	;;#ASMEND
	;;#ASMSTART
	v_dot2_f32_f16 v68, v77, v81, v68
	;;#ASMEND
	v_mov_b32_e32 v67, 0
	;;#ASMSTART
	v_dot2_f32_f16 v68, v78, v82, v68
	;;#ASMEND
	;;#ASMSTART
	v_dot2_f32_f16 v67, v75, v83, v67
	;;#ASMEND
	;;#ASMSTART
	v_dot2_f32_f16 v67, v76, v84, v67
	;;#ASMEND
	;; [unrolled: 3-line block ×4, first 2 shown]
	ds_read_b128 v[69:72], v34 offset:16
	ds_read_b128 v[73:76], v34 offset:4624
	;; [unrolled: 1-line block ×6, first 2 shown]
	s_waitcnt lgkmcnt(1)
	;;#ASMSTART
	v_dot2_f32_f16 v18, v69, v85, v18
	;;#ASMEND
	;;#ASMSTART
	v_dot2_f32_f16 v18, v70, v86, v18
	;;#ASMEND
	;; [unrolled: 3-line block ×4, first 2 shown]
	s_waitcnt lgkmcnt(0)
	;;#ASMSTART
	v_dot2_f32_f16 v19, v69, v89, v19
	;;#ASMEND
	;;#ASMSTART
	v_dot2_f32_f16 v19, v70, v90, v19
	;;#ASMEND
	;; [unrolled: 3-line block ×28, first 2 shown]
	ds_read_b128 v[69:72], v34 offset:32
	ds_read_b128 v[73:76], v34 offset:4640
	ds_read_b128 v[77:80], v34 offset:9248
	ds_read_b128 v[81:84], v34 offset:13856
	ds_read_b128 v[85:88], v23 offset:32
	ds_read_b128 v[89:92], v23 offset:1184
	s_waitcnt lgkmcnt(1)
	;;#ASMSTART
	v_dot2_f32_f16 v18, v69, v85, v18
	;;#ASMEND
	;;#ASMSTART
	v_dot2_f32_f16 v18, v70, v86, v18
	;;#ASMEND
	;; [unrolled: 3-line block ×4, first 2 shown]
	s_waitcnt lgkmcnt(0)
	;;#ASMSTART
	v_dot2_f32_f16 v19, v69, v89, v19
	;;#ASMEND
	;;#ASMSTART
	v_dot2_f32_f16 v19, v70, v90, v19
	;;#ASMEND
	;; [unrolled: 3-line block ×28, first 2 shown]
	ds_read_b128 v[69:72], v34 offset:48
	ds_read_b128 v[73:76], v34 offset:4656
	;; [unrolled: 1-line block ×6, first 2 shown]
	s_waitcnt lgkmcnt(1)
	;;#ASMSTART
	v_dot2_f32_f16 v18, v69, v85, v18
	;;#ASMEND
	;;#ASMSTART
	v_dot2_f32_f16 v18, v70, v86, v18
	;;#ASMEND
	;; [unrolled: 3-line block ×4, first 2 shown]
	s_waitcnt lgkmcnt(0)
	;;#ASMSTART
	v_dot2_f32_f16 v19, v69, v89, v19
	;;#ASMEND
	;;#ASMSTART
	v_dot2_f32_f16 v19, v70, v90, v19
	;;#ASMEND
	;; [unrolled: 3-line block ×28, first 2 shown]
	ds_read_b128 v[69:72], v34 offset:64
	ds_read_b128 v[73:76], v34 offset:4672
	;; [unrolled: 1-line block ×6, first 2 shown]
	s_waitcnt lgkmcnt(1)
	;;#ASMSTART
	v_dot2_f32_f16 v18, v69, v85, v18
	;;#ASMEND
	;;#ASMSTART
	v_dot2_f32_f16 v18, v70, v86, v18
	;;#ASMEND
	;; [unrolled: 3-line block ×4, first 2 shown]
	s_waitcnt lgkmcnt(0)
	;;#ASMSTART
	v_dot2_f32_f16 v19, v69, v89, v19
	;;#ASMEND
	;;#ASMSTART
	v_dot2_f32_f16 v19, v70, v90, v19
	;;#ASMEND
	;; [unrolled: 3-line block ×28, first 2 shown]
	ds_read_b128 v[69:72], v34 offset:80
	ds_read_b128 v[73:76], v34 offset:4688
	;; [unrolled: 1-line block ×6, first 2 shown]
	s_waitcnt lgkmcnt(1)
	;;#ASMSTART
	v_dot2_f32_f16 v18, v69, v85, v18
	;;#ASMEND
	;;#ASMSTART
	v_dot2_f32_f16 v18, v70, v86, v18
	;;#ASMEND
	;;#ASMSTART
	v_dot2_f32_f16 v18, v71, v87, v18
	;;#ASMEND
	;;#ASMSTART
	v_dot2_f32_f16 v18, v72, v88, v18
	;;#ASMEND
	s_waitcnt lgkmcnt(0)
	;;#ASMSTART
	v_dot2_f32_f16 v19, v69, v89, v19
	;;#ASMEND
	;;#ASMSTART
	v_dot2_f32_f16 v19, v70, v90, v19
	;;#ASMEND
	;; [unrolled: 3-line block ×28, first 2 shown]
	ds_read_b128 v[69:72], v34 offset:96
	ds_read_b128 v[73:76], v34 offset:4704
	ds_read_b128 v[77:80], v34 offset:9312
	ds_read_b128 v[81:84], v34 offset:13920
	ds_read_b128 v[85:88], v23 offset:96
	ds_read_b128 v[89:92], v23 offset:1248
	s_waitcnt lgkmcnt(1)
	;;#ASMSTART
	v_dot2_f32_f16 v18, v69, v85, v18
	;;#ASMEND
	;;#ASMSTART
	v_dot2_f32_f16 v18, v70, v86, v18
	;;#ASMEND
	;;#ASMSTART
	v_dot2_f32_f16 v18, v71, v87, v18
	;;#ASMEND
	;;#ASMSTART
	v_dot2_f32_f16 v18, v72, v88, v18
	;;#ASMEND
	s_waitcnt lgkmcnt(0)
	;;#ASMSTART
	v_dot2_f32_f16 v19, v69, v89, v19
	;;#ASMEND
	;;#ASMSTART
	v_dot2_f32_f16 v19, v70, v90, v19
	;;#ASMEND
	;; [unrolled: 3-line block ×28, first 2 shown]
	ds_read_b128 v[69:72], v34 offset:112
	ds_read_b128 v[73:76], v34 offset:4720
	;; [unrolled: 1-line block ×6, first 2 shown]
	s_waitcnt lgkmcnt(1)
	;;#ASMSTART
	v_dot2_f32_f16 v18, v69, v85, v18
	;;#ASMEND
	;;#ASMSTART
	v_dot2_f32_f16 v18, v70, v86, v18
	;;#ASMEND
	;; [unrolled: 3-line block ×4, first 2 shown]
	s_waitcnt lgkmcnt(0)
	;;#ASMSTART
	v_dot2_f32_f16 v19, v69, v89, v19
	;;#ASMEND
	;;#ASMSTART
	v_dot2_f32_f16 v19, v70, v90, v19
	;;#ASMEND
	;; [unrolled: 3-line block ×28, first 2 shown]
	s_barrier
	global_load_dwordx4 v[69:72], v[1:2], off offset:128
	s_waitcnt vmcnt(0)
	ds_write_b128 v32, v[69:72]
	global_load_dwordx4 v[69:72], v[3:4], off offset:128
	s_waitcnt vmcnt(0)
	ds_write_b128 v33, v[69:72]
	s_waitcnt lgkmcnt(0)
	s_barrier
	ds_read_b128 v[69:72], v34
	ds_read_b128 v[73:76], v34 offset:4608
	ds_read_b128 v[77:80], v34 offset:9216
	;; [unrolled: 1-line block ×5, first 2 shown]
	s_waitcnt lgkmcnt(1)
	;;#ASMSTART
	v_dot2_f32_f16 v18, v69, v85, v18
	;;#ASMEND
	;;#ASMSTART
	v_dot2_f32_f16 v18, v70, v86, v18
	;;#ASMEND
	;; [unrolled: 3-line block ×4, first 2 shown]
	s_waitcnt lgkmcnt(0)
	;;#ASMSTART
	v_dot2_f32_f16 v19, v69, v89, v19
	;;#ASMEND
	;;#ASMSTART
	v_dot2_f32_f16 v19, v70, v90, v19
	;;#ASMEND
	;; [unrolled: 3-line block ×28, first 2 shown]
	ds_read_b128 v[69:72], v34 offset:16
	ds_read_b128 v[73:76], v34 offset:4624
	;; [unrolled: 1-line block ×6, first 2 shown]
	s_waitcnt lgkmcnt(1)
	;;#ASMSTART
	v_dot2_f32_f16 v18, v69, v85, v18
	;;#ASMEND
	;;#ASMSTART
	v_dot2_f32_f16 v18, v70, v86, v18
	;;#ASMEND
	;;#ASMSTART
	v_dot2_f32_f16 v18, v71, v87, v18
	;;#ASMEND
	;;#ASMSTART
	v_dot2_f32_f16 v18, v72, v88, v18
	;;#ASMEND
	s_waitcnt lgkmcnt(0)
	;;#ASMSTART
	v_dot2_f32_f16 v19, v69, v89, v19
	;;#ASMEND
	;;#ASMSTART
	v_dot2_f32_f16 v19, v70, v90, v19
	;;#ASMEND
	;; [unrolled: 3-line block ×28, first 2 shown]
	ds_read_b128 v[69:72], v34 offset:32
	ds_read_b128 v[73:76], v34 offset:4640
	;; [unrolled: 1-line block ×6, first 2 shown]
	s_waitcnt lgkmcnt(1)
	;;#ASMSTART
	v_dot2_f32_f16 v18, v69, v85, v18
	;;#ASMEND
	;;#ASMSTART
	v_dot2_f32_f16 v18, v70, v86, v18
	;;#ASMEND
	;; [unrolled: 3-line block ×4, first 2 shown]
	s_waitcnt lgkmcnt(0)
	;;#ASMSTART
	v_dot2_f32_f16 v19, v69, v89, v19
	;;#ASMEND
	;;#ASMSTART
	v_dot2_f32_f16 v19, v70, v90, v19
	;;#ASMEND
	;; [unrolled: 3-line block ×28, first 2 shown]
	ds_read_b128 v[69:72], v34 offset:48
	ds_read_b128 v[73:76], v34 offset:4656
	;; [unrolled: 1-line block ×6, first 2 shown]
	s_waitcnt lgkmcnt(1)
	;;#ASMSTART
	v_dot2_f32_f16 v18, v69, v85, v18
	;;#ASMEND
	;;#ASMSTART
	v_dot2_f32_f16 v18, v70, v86, v18
	;;#ASMEND
	;; [unrolled: 3-line block ×4, first 2 shown]
	s_waitcnt lgkmcnt(0)
	;;#ASMSTART
	v_dot2_f32_f16 v19, v69, v89, v19
	;;#ASMEND
	;;#ASMSTART
	v_dot2_f32_f16 v19, v70, v90, v19
	;;#ASMEND
	;; [unrolled: 3-line block ×28, first 2 shown]
	ds_read_b128 v[69:72], v34 offset:64
	ds_read_b128 v[73:76], v34 offset:4672
	;; [unrolled: 1-line block ×6, first 2 shown]
	s_waitcnt lgkmcnt(1)
	;;#ASMSTART
	v_dot2_f32_f16 v18, v69, v85, v18
	;;#ASMEND
	;;#ASMSTART
	v_dot2_f32_f16 v18, v70, v86, v18
	;;#ASMEND
	;; [unrolled: 3-line block ×4, first 2 shown]
	s_waitcnt lgkmcnt(0)
	;;#ASMSTART
	v_dot2_f32_f16 v19, v69, v89, v19
	;;#ASMEND
	;;#ASMSTART
	v_dot2_f32_f16 v19, v70, v90, v19
	;;#ASMEND
	;; [unrolled: 3-line block ×28, first 2 shown]
	ds_read_b128 v[69:72], v34 offset:80
	ds_read_b128 v[73:76], v34 offset:4688
	;; [unrolled: 1-line block ×6, first 2 shown]
	s_waitcnt lgkmcnt(1)
	;;#ASMSTART
	v_dot2_f32_f16 v18, v69, v85, v18
	;;#ASMEND
	;;#ASMSTART
	v_dot2_f32_f16 v18, v70, v86, v18
	;;#ASMEND
	;; [unrolled: 3-line block ×4, first 2 shown]
	s_waitcnt lgkmcnt(0)
	;;#ASMSTART
	v_dot2_f32_f16 v19, v69, v89, v19
	;;#ASMEND
	;;#ASMSTART
	v_dot2_f32_f16 v19, v70, v90, v19
	;;#ASMEND
	;; [unrolled: 3-line block ×28, first 2 shown]
	ds_read_b128 v[69:72], v34 offset:96
	ds_read_b128 v[73:76], v34 offset:4704
	;; [unrolled: 1-line block ×6, first 2 shown]
	s_waitcnt lgkmcnt(1)
	;;#ASMSTART
	v_dot2_f32_f16 v18, v69, v85, v18
	;;#ASMEND
	;;#ASMSTART
	v_dot2_f32_f16 v18, v70, v86, v18
	;;#ASMEND
	;; [unrolled: 3-line block ×4, first 2 shown]
	s_waitcnt lgkmcnt(0)
	;;#ASMSTART
	v_dot2_f32_f16 v19, v69, v89, v19
	;;#ASMEND
	;;#ASMSTART
	v_dot2_f32_f16 v19, v70, v90, v19
	;;#ASMEND
	;; [unrolled: 3-line block ×28, first 2 shown]
	ds_read_b128 v[69:72], v34 offset:112
	ds_read_b128 v[73:76], v34 offset:4720
	;; [unrolled: 1-line block ×6, first 2 shown]
	s_waitcnt lgkmcnt(1)
	;;#ASMSTART
	v_dot2_f32_f16 v18, v69, v85, v18
	;;#ASMEND
	;;#ASMSTART
	v_dot2_f32_f16 v18, v70, v86, v18
	;;#ASMEND
	;; [unrolled: 3-line block ×4, first 2 shown]
	s_waitcnt lgkmcnt(0)
	;;#ASMSTART
	v_dot2_f32_f16 v19, v69, v89, v19
	;;#ASMEND
	;;#ASMSTART
	v_dot2_f32_f16 v19, v70, v90, v19
	;;#ASMEND
	;; [unrolled: 3-line block ×28, first 2 shown]
	s_barrier
	global_load_dwordx4 v[69:72], v[1:2], off offset:256
	s_waitcnt vmcnt(0)
	ds_write_b128 v32, v[69:72]
	global_load_dwordx4 v[69:72], v[3:4], off offset:256
	s_waitcnt vmcnt(0)
	ds_write_b128 v33, v[69:72]
	s_waitcnt lgkmcnt(0)
	s_barrier
	ds_read_b128 v[69:72], v34
	ds_read_b128 v[73:76], v34 offset:4608
	ds_read_b128 v[77:80], v34 offset:9216
	ds_read_b128 v[81:84], v34 offset:13824
	ds_read_b128 v[85:88], v23 offset:256
	ds_read_b128 v[89:92], v23 offset:1408
	s_waitcnt lgkmcnt(1)
	;;#ASMSTART
	v_dot2_f32_f16 v18, v69, v85, v18
	;;#ASMEND
	;;#ASMSTART
	v_dot2_f32_f16 v18, v70, v86, v18
	;;#ASMEND
	;; [unrolled: 3-line block ×4, first 2 shown]
	s_waitcnt lgkmcnt(0)
	;;#ASMSTART
	v_dot2_f32_f16 v19, v69, v89, v19
	;;#ASMEND
	;;#ASMSTART
	v_dot2_f32_f16 v19, v70, v90, v19
	;;#ASMEND
	;; [unrolled: 3-line block ×28, first 2 shown]
	ds_read_b128 v[69:72], v34 offset:16
	ds_read_b128 v[73:76], v34 offset:4624
	;; [unrolled: 1-line block ×6, first 2 shown]
	s_waitcnt lgkmcnt(1)
	;;#ASMSTART
	v_dot2_f32_f16 v18, v69, v85, v18
	;;#ASMEND
	;;#ASMSTART
	v_dot2_f32_f16 v18, v70, v86, v18
	;;#ASMEND
	;; [unrolled: 3-line block ×4, first 2 shown]
	s_waitcnt lgkmcnt(0)
	;;#ASMSTART
	v_dot2_f32_f16 v19, v69, v89, v19
	;;#ASMEND
	;;#ASMSTART
	v_dot2_f32_f16 v19, v70, v90, v19
	;;#ASMEND
	;; [unrolled: 3-line block ×28, first 2 shown]
	ds_read_b128 v[69:72], v34 offset:32
	ds_read_b128 v[73:76], v34 offset:4640
	;; [unrolled: 1-line block ×6, first 2 shown]
	s_waitcnt lgkmcnt(1)
	;;#ASMSTART
	v_dot2_f32_f16 v18, v69, v85, v18
	;;#ASMEND
	;;#ASMSTART
	v_dot2_f32_f16 v18, v70, v86, v18
	;;#ASMEND
	;; [unrolled: 3-line block ×4, first 2 shown]
	s_waitcnt lgkmcnt(0)
	;;#ASMSTART
	v_dot2_f32_f16 v19, v69, v89, v19
	;;#ASMEND
	;;#ASMSTART
	v_dot2_f32_f16 v19, v70, v90, v19
	;;#ASMEND
	;; [unrolled: 3-line block ×28, first 2 shown]
	ds_read_b128 v[69:72], v34 offset:48
	ds_read_b128 v[73:76], v34 offset:4656
	;; [unrolled: 1-line block ×6, first 2 shown]
	s_waitcnt lgkmcnt(1)
	;;#ASMSTART
	v_dot2_f32_f16 v18, v69, v85, v18
	;;#ASMEND
	;;#ASMSTART
	v_dot2_f32_f16 v18, v70, v86, v18
	;;#ASMEND
	;; [unrolled: 3-line block ×4, first 2 shown]
	s_waitcnt lgkmcnt(0)
	;;#ASMSTART
	v_dot2_f32_f16 v19, v69, v89, v19
	;;#ASMEND
	;;#ASMSTART
	v_dot2_f32_f16 v19, v70, v90, v19
	;;#ASMEND
	;; [unrolled: 3-line block ×28, first 2 shown]
	ds_read_b128 v[69:72], v34 offset:64
	ds_read_b128 v[73:76], v34 offset:4672
	;; [unrolled: 1-line block ×6, first 2 shown]
	s_waitcnt lgkmcnt(1)
	;;#ASMSTART
	v_dot2_f32_f16 v18, v69, v85, v18
	;;#ASMEND
	;;#ASMSTART
	v_dot2_f32_f16 v18, v70, v86, v18
	;;#ASMEND
	;; [unrolled: 3-line block ×4, first 2 shown]
	s_waitcnt lgkmcnt(0)
	;;#ASMSTART
	v_dot2_f32_f16 v19, v69, v89, v19
	;;#ASMEND
	;;#ASMSTART
	v_dot2_f32_f16 v19, v70, v90, v19
	;;#ASMEND
	;; [unrolled: 3-line block ×28, first 2 shown]
	ds_read_b128 v[69:72], v34 offset:80
	ds_read_b128 v[73:76], v34 offset:4688
	;; [unrolled: 1-line block ×6, first 2 shown]
	s_waitcnt lgkmcnt(1)
	;;#ASMSTART
	v_dot2_f32_f16 v18, v69, v85, v18
	;;#ASMEND
	;;#ASMSTART
	v_dot2_f32_f16 v18, v70, v86, v18
	;;#ASMEND
	;; [unrolled: 3-line block ×4, first 2 shown]
	s_waitcnt lgkmcnt(0)
	;;#ASMSTART
	v_dot2_f32_f16 v19, v69, v89, v19
	;;#ASMEND
	;;#ASMSTART
	v_dot2_f32_f16 v19, v70, v90, v19
	;;#ASMEND
	;;#ASMSTART
	v_dot2_f32_f16 v19, v71, v91, v19
	;;#ASMEND
	;;#ASMSTART
	v_dot2_f32_f16 v19, v72, v92, v19
	;;#ASMEND
	;;#ASMSTART
	v_dot2_f32_f16 v64, v73, v85, v64
	;;#ASMEND
	;;#ASMSTART
	v_dot2_f32_f16 v64, v74, v86, v64
	;;#ASMEND
	;;#ASMSTART
	v_dot2_f32_f16 v64, v75, v87, v64
	;;#ASMEND
	;;#ASMSTART
	v_dot2_f32_f16 v64, v76, v88, v64
	;;#ASMEND
	;;#ASMSTART
	v_dot2_f32_f16 v63, v73, v89, v63
	;;#ASMEND
	;;#ASMSTART
	v_dot2_f32_f16 v63, v74, v90, v63
	;;#ASMEND
	;;#ASMSTART
	v_dot2_f32_f16 v63, v75, v91, v63
	;;#ASMEND
	;;#ASMSTART
	v_dot2_f32_f16 v63, v76, v92, v63
	;;#ASMEND
	;;#ASMSTART
	v_dot2_f32_f16 v66, v77, v85, v66
	;;#ASMEND
	;;#ASMSTART
	v_dot2_f32_f16 v66, v78, v86, v66
	;;#ASMEND
	;;#ASMSTART
	v_dot2_f32_f16 v66, v79, v87, v66
	;;#ASMEND
	;;#ASMSTART
	v_dot2_f32_f16 v66, v80, v88, v66
	;;#ASMEND
	;;#ASMSTART
	v_dot2_f32_f16 v65, v77, v89, v65
	;;#ASMEND
	;;#ASMSTART
	v_dot2_f32_f16 v65, v78, v90, v65
	;;#ASMEND
	;;#ASMSTART
	v_dot2_f32_f16 v65, v79, v91, v65
	;;#ASMEND
	;;#ASMSTART
	v_dot2_f32_f16 v65, v80, v92, v65
	;;#ASMEND
	;;#ASMSTART
	v_dot2_f32_f16 v68, v81, v85, v68
	;;#ASMEND
	;;#ASMSTART
	v_dot2_f32_f16 v68, v82, v86, v68
	;;#ASMEND
	;;#ASMSTART
	v_dot2_f32_f16 v68, v83, v87, v68
	;;#ASMEND
	;;#ASMSTART
	v_dot2_f32_f16 v68, v84, v88, v68
	;;#ASMEND
	;;#ASMSTART
	v_dot2_f32_f16 v67, v81, v89, v67
	;;#ASMEND
	;;#ASMSTART
	v_dot2_f32_f16 v67, v82, v90, v67
	;;#ASMEND
	;;#ASMSTART
	v_dot2_f32_f16 v67, v83, v91, v67
	;;#ASMEND
	;;#ASMSTART
	v_dot2_f32_f16 v67, v84, v92, v67
	;;#ASMEND
	ds_read_b128 v[69:72], v34 offset:96
	ds_read_b128 v[73:76], v34 offset:4704
	;; [unrolled: 1-line block ×6, first 2 shown]
	s_waitcnt lgkmcnt(1)
	;;#ASMSTART
	v_dot2_f32_f16 v18, v69, v85, v18
	;;#ASMEND
	;;#ASMSTART
	v_dot2_f32_f16 v18, v70, v86, v18
	;;#ASMEND
	;; [unrolled: 3-line block ×4, first 2 shown]
	s_waitcnt lgkmcnt(0)
	;;#ASMSTART
	v_dot2_f32_f16 v19, v69, v89, v19
	;;#ASMEND
	;;#ASMSTART
	v_dot2_f32_f16 v19, v70, v90, v19
	;;#ASMEND
	;; [unrolled: 3-line block ×28, first 2 shown]
	ds_read_b128 v[69:72], v34 offset:112
	ds_read_b128 v[73:76], v34 offset:4720
	;; [unrolled: 1-line block ×6, first 2 shown]
	s_waitcnt lgkmcnt(1)
	;;#ASMSTART
	v_dot2_f32_f16 v18, v69, v85, v18
	;;#ASMEND
	;;#ASMSTART
	v_dot2_f32_f16 v18, v70, v86, v18
	;;#ASMEND
	;; [unrolled: 3-line block ×4, first 2 shown]
	s_waitcnt lgkmcnt(0)
	;;#ASMSTART
	v_dot2_f32_f16 v19, v69, v89, v19
	;;#ASMEND
	;;#ASMSTART
	v_dot2_f32_f16 v19, v70, v90, v19
	;;#ASMEND
	;; [unrolled: 3-line block ×28, first 2 shown]
	s_barrier
	global_load_dwordx4 v[69:72], v[1:2], off offset:384
	s_waitcnt vmcnt(0)
	ds_write_b128 v32, v[69:72]
	global_load_dwordx4 v[69:72], v[3:4], off offset:384
	s_waitcnt vmcnt(0)
	ds_write_b128 v33, v[69:72]
	s_waitcnt lgkmcnt(0)
	s_barrier
	ds_read_b128 v[69:72], v34
	ds_read_b128 v[73:76], v34 offset:4608
	ds_read_b128 v[77:80], v34 offset:9216
	;; [unrolled: 1-line block ×5, first 2 shown]
	s_waitcnt lgkmcnt(1)
	;;#ASMSTART
	v_dot2_f32_f16 v18, v69, v85, v18
	;;#ASMEND
	;;#ASMSTART
	v_dot2_f32_f16 v18, v70, v86, v18
	;;#ASMEND
	;; [unrolled: 3-line block ×4, first 2 shown]
	s_waitcnt lgkmcnt(0)
	;;#ASMSTART
	v_dot2_f32_f16 v19, v69, v89, v19
	;;#ASMEND
	;;#ASMSTART
	v_dot2_f32_f16 v19, v70, v90, v19
	;;#ASMEND
	;; [unrolled: 3-line block ×28, first 2 shown]
	ds_read_b128 v[69:72], v34 offset:16
	ds_read_b128 v[73:76], v34 offset:4624
	ds_read_b128 v[77:80], v34 offset:9232
	ds_read_b128 v[81:84], v34 offset:13840
	ds_read_b128 v[85:88], v23 offset:400
	ds_read_b128 v[89:92], v23 offset:1552
	s_waitcnt lgkmcnt(1)
	;;#ASMSTART
	v_dot2_f32_f16 v18, v69, v85, v18
	;;#ASMEND
	;;#ASMSTART
	v_dot2_f32_f16 v18, v70, v86, v18
	;;#ASMEND
	;; [unrolled: 3-line block ×4, first 2 shown]
	s_waitcnt lgkmcnt(0)
	;;#ASMSTART
	v_dot2_f32_f16 v19, v69, v89, v19
	;;#ASMEND
	;;#ASMSTART
	v_dot2_f32_f16 v19, v70, v90, v19
	;;#ASMEND
	;; [unrolled: 3-line block ×28, first 2 shown]
	ds_read_b128 v[69:72], v34 offset:32
	ds_read_b128 v[73:76], v34 offset:4640
	;; [unrolled: 1-line block ×6, first 2 shown]
	s_waitcnt lgkmcnt(1)
	;;#ASMSTART
	v_dot2_f32_f16 v18, v69, v85, v18
	;;#ASMEND
	;;#ASMSTART
	v_dot2_f32_f16 v18, v70, v86, v18
	;;#ASMEND
	;; [unrolled: 3-line block ×4, first 2 shown]
	s_waitcnt lgkmcnt(0)
	;;#ASMSTART
	v_dot2_f32_f16 v19, v69, v89, v19
	;;#ASMEND
	;;#ASMSTART
	v_dot2_f32_f16 v19, v70, v90, v19
	;;#ASMEND
	;; [unrolled: 3-line block ×28, first 2 shown]
	ds_read_b128 v[69:72], v34 offset:48
	ds_read_b128 v[73:76], v34 offset:4656
	;; [unrolled: 1-line block ×6, first 2 shown]
	s_waitcnt lgkmcnt(1)
	;;#ASMSTART
	v_dot2_f32_f16 v18, v69, v85, v18
	;;#ASMEND
	;;#ASMSTART
	v_dot2_f32_f16 v18, v70, v86, v18
	;;#ASMEND
	;; [unrolled: 3-line block ×4, first 2 shown]
	s_waitcnt lgkmcnt(0)
	;;#ASMSTART
	v_dot2_f32_f16 v19, v69, v89, v19
	;;#ASMEND
	;;#ASMSTART
	v_dot2_f32_f16 v19, v70, v90, v19
	;;#ASMEND
	;; [unrolled: 3-line block ×28, first 2 shown]
	ds_read_b128 v[69:72], v34 offset:64
	ds_read_b128 v[73:76], v34 offset:4672
	;; [unrolled: 1-line block ×6, first 2 shown]
	s_waitcnt lgkmcnt(1)
	;;#ASMSTART
	v_dot2_f32_f16 v18, v69, v85, v18
	;;#ASMEND
	;;#ASMSTART
	v_dot2_f32_f16 v18, v70, v86, v18
	;;#ASMEND
	;; [unrolled: 3-line block ×4, first 2 shown]
	s_waitcnt lgkmcnt(0)
	;;#ASMSTART
	v_dot2_f32_f16 v19, v69, v89, v19
	;;#ASMEND
	;;#ASMSTART
	v_dot2_f32_f16 v19, v70, v90, v19
	;;#ASMEND
	;;#ASMSTART
	v_dot2_f32_f16 v19, v71, v91, v19
	;;#ASMEND
	;;#ASMSTART
	v_dot2_f32_f16 v19, v72, v92, v19
	;;#ASMEND
	;;#ASMSTART
	v_dot2_f32_f16 v64, v73, v85, v64
	;;#ASMEND
	;;#ASMSTART
	v_dot2_f32_f16 v64, v74, v86, v64
	;;#ASMEND
	;;#ASMSTART
	v_dot2_f32_f16 v64, v75, v87, v64
	;;#ASMEND
	;;#ASMSTART
	v_dot2_f32_f16 v64, v76, v88, v64
	;;#ASMEND
	;;#ASMSTART
	v_dot2_f32_f16 v63, v73, v89, v63
	;;#ASMEND
	;;#ASMSTART
	v_dot2_f32_f16 v63, v74, v90, v63
	;;#ASMEND
	;;#ASMSTART
	v_dot2_f32_f16 v63, v75, v91, v63
	;;#ASMEND
	;;#ASMSTART
	v_dot2_f32_f16 v63, v76, v92, v63
	;;#ASMEND
	;;#ASMSTART
	v_dot2_f32_f16 v66, v77, v85, v66
	;;#ASMEND
	;;#ASMSTART
	v_dot2_f32_f16 v66, v78, v86, v66
	;;#ASMEND
	;;#ASMSTART
	v_dot2_f32_f16 v66, v79, v87, v66
	;;#ASMEND
	;;#ASMSTART
	v_dot2_f32_f16 v66, v80, v88, v66
	;;#ASMEND
	;;#ASMSTART
	v_dot2_f32_f16 v65, v77, v89, v65
	;;#ASMEND
	;;#ASMSTART
	v_dot2_f32_f16 v65, v78, v90, v65
	;;#ASMEND
	;;#ASMSTART
	v_dot2_f32_f16 v65, v79, v91, v65
	;;#ASMEND
	;;#ASMSTART
	v_dot2_f32_f16 v65, v80, v92, v65
	;;#ASMEND
	;;#ASMSTART
	v_dot2_f32_f16 v68, v81, v85, v68
	;;#ASMEND
	;;#ASMSTART
	v_dot2_f32_f16 v68, v82, v86, v68
	;;#ASMEND
	;;#ASMSTART
	v_dot2_f32_f16 v68, v83, v87, v68
	;;#ASMEND
	;;#ASMSTART
	v_dot2_f32_f16 v68, v84, v88, v68
	;;#ASMEND
	;;#ASMSTART
	v_dot2_f32_f16 v67, v81, v89, v67
	;;#ASMEND
	;;#ASMSTART
	v_dot2_f32_f16 v67, v82, v90, v67
	;;#ASMEND
	;;#ASMSTART
	v_dot2_f32_f16 v67, v83, v91, v67
	;;#ASMEND
	;;#ASMSTART
	v_dot2_f32_f16 v67, v84, v92, v67
	;;#ASMEND
	ds_read_b128 v[69:72], v34 offset:80
	ds_read_b128 v[73:76], v34 offset:4688
	;; [unrolled: 1-line block ×6, first 2 shown]
	s_waitcnt lgkmcnt(1)
	;;#ASMSTART
	v_dot2_f32_f16 v18, v69, v85, v18
	;;#ASMEND
	;;#ASMSTART
	v_dot2_f32_f16 v18, v70, v86, v18
	;;#ASMEND
	;; [unrolled: 3-line block ×4, first 2 shown]
	s_waitcnt lgkmcnt(0)
	;;#ASMSTART
	v_dot2_f32_f16 v19, v69, v89, v19
	;;#ASMEND
	;;#ASMSTART
	v_dot2_f32_f16 v19, v70, v90, v19
	;;#ASMEND
	;; [unrolled: 3-line block ×28, first 2 shown]
	ds_read_b128 v[69:72], v34 offset:96
	ds_read_b128 v[73:76], v34 offset:4704
	;; [unrolled: 1-line block ×6, first 2 shown]
	s_waitcnt lgkmcnt(1)
	;;#ASMSTART
	v_dot2_f32_f16 v18, v69, v85, v18
	;;#ASMEND
	;;#ASMSTART
	v_dot2_f32_f16 v18, v70, v86, v18
	;;#ASMEND
	;; [unrolled: 3-line block ×4, first 2 shown]
	s_waitcnt lgkmcnt(0)
	;;#ASMSTART
	v_dot2_f32_f16 v19, v69, v89, v19
	;;#ASMEND
	;;#ASMSTART
	v_dot2_f32_f16 v19, v70, v90, v19
	;;#ASMEND
	;; [unrolled: 3-line block ×28, first 2 shown]
	ds_read_b128 v[69:72], v34 offset:112
	ds_read_b128 v[73:76], v34 offset:4720
	;; [unrolled: 1-line block ×6, first 2 shown]
	s_waitcnt lgkmcnt(1)
	;;#ASMSTART
	v_dot2_f32_f16 v18, v69, v85, v18
	;;#ASMEND
	;;#ASMSTART
	v_dot2_f32_f16 v18, v70, v86, v18
	;;#ASMEND
	;; [unrolled: 3-line block ×4, first 2 shown]
	s_waitcnt lgkmcnt(0)
	;;#ASMSTART
	v_dot2_f32_f16 v19, v69, v89, v19
	;;#ASMEND
	;;#ASMSTART
	v_dot2_f32_f16 v19, v70, v90, v19
	;;#ASMEND
	;; [unrolled: 3-line block ×28, first 2 shown]
	s_barrier
	global_load_dwordx4 v[69:72], v[1:2], off offset:512
	s_waitcnt vmcnt(0)
	ds_write_b128 v32, v[69:72]
	global_load_dwordx4 v[69:72], v[3:4], off offset:512
	s_waitcnt vmcnt(0)
	ds_write_b128 v33, v[69:72]
	s_waitcnt lgkmcnt(0)
	s_barrier
	ds_read_b128 v[69:72], v34
	ds_read_b128 v[73:76], v34 offset:4608
	ds_read_b128 v[77:80], v34 offset:9216
	;; [unrolled: 1-line block ×5, first 2 shown]
	s_waitcnt lgkmcnt(1)
	;;#ASMSTART
	v_dot2_f32_f16 v18, v69, v85, v18
	;;#ASMEND
	;;#ASMSTART
	v_dot2_f32_f16 v18, v70, v86, v18
	;;#ASMEND
	;; [unrolled: 3-line block ×4, first 2 shown]
	s_waitcnt lgkmcnt(0)
	;;#ASMSTART
	v_dot2_f32_f16 v19, v69, v89, v19
	;;#ASMEND
	;;#ASMSTART
	v_dot2_f32_f16 v19, v70, v90, v19
	;;#ASMEND
	;; [unrolled: 3-line block ×28, first 2 shown]
	ds_read_b128 v[69:72], v34 offset:16
	ds_read_b128 v[73:76], v34 offset:4624
	;; [unrolled: 1-line block ×6, first 2 shown]
	s_waitcnt lgkmcnt(1)
	;;#ASMSTART
	v_dot2_f32_f16 v18, v69, v85, v18
	;;#ASMEND
	;;#ASMSTART
	v_dot2_f32_f16 v18, v70, v86, v18
	;;#ASMEND
	;; [unrolled: 3-line block ×4, first 2 shown]
	s_waitcnt lgkmcnt(0)
	;;#ASMSTART
	v_dot2_f32_f16 v19, v69, v89, v19
	;;#ASMEND
	;;#ASMSTART
	v_dot2_f32_f16 v19, v70, v90, v19
	;;#ASMEND
	;; [unrolled: 3-line block ×28, first 2 shown]
	ds_read_b128 v[69:72], v34 offset:32
	ds_read_b128 v[73:76], v34 offset:4640
	;; [unrolled: 1-line block ×6, first 2 shown]
	s_waitcnt lgkmcnt(1)
	;;#ASMSTART
	v_dot2_f32_f16 v18, v69, v85, v18
	;;#ASMEND
	;;#ASMSTART
	v_dot2_f32_f16 v18, v70, v86, v18
	;;#ASMEND
	;; [unrolled: 3-line block ×4, first 2 shown]
	s_waitcnt lgkmcnt(0)
	;;#ASMSTART
	v_dot2_f32_f16 v19, v69, v89, v19
	;;#ASMEND
	;;#ASMSTART
	v_dot2_f32_f16 v19, v70, v90, v19
	;;#ASMEND
	;; [unrolled: 3-line block ×28, first 2 shown]
	ds_read_b128 v[69:72], v34 offset:48
	ds_read_b128 v[73:76], v34 offset:4656
	;; [unrolled: 1-line block ×6, first 2 shown]
	s_waitcnt lgkmcnt(1)
	;;#ASMSTART
	v_dot2_f32_f16 v18, v69, v85, v18
	;;#ASMEND
	;;#ASMSTART
	v_dot2_f32_f16 v18, v70, v86, v18
	;;#ASMEND
	;; [unrolled: 3-line block ×4, first 2 shown]
	s_waitcnt lgkmcnt(0)
	;;#ASMSTART
	v_dot2_f32_f16 v19, v69, v89, v19
	;;#ASMEND
	;;#ASMSTART
	v_dot2_f32_f16 v19, v70, v90, v19
	;;#ASMEND
	;; [unrolled: 3-line block ×28, first 2 shown]
	ds_read_b128 v[69:72], v34 offset:64
	ds_read_b128 v[73:76], v34 offset:4672
	;; [unrolled: 1-line block ×6, first 2 shown]
	s_waitcnt lgkmcnt(1)
	;;#ASMSTART
	v_dot2_f32_f16 v18, v69, v85, v18
	;;#ASMEND
	;;#ASMSTART
	v_dot2_f32_f16 v18, v70, v86, v18
	;;#ASMEND
	;; [unrolled: 3-line block ×4, first 2 shown]
	s_waitcnt lgkmcnt(0)
	;;#ASMSTART
	v_dot2_f32_f16 v19, v69, v89, v19
	;;#ASMEND
	;;#ASMSTART
	v_dot2_f32_f16 v19, v70, v90, v19
	;;#ASMEND
	;;#ASMSTART
	v_dot2_f32_f16 v19, v71, v91, v19
	;;#ASMEND
	;;#ASMSTART
	v_dot2_f32_f16 v19, v72, v92, v19
	;;#ASMEND
	;;#ASMSTART
	v_dot2_f32_f16 v64, v73, v85, v64
	;;#ASMEND
	;;#ASMSTART
	v_dot2_f32_f16 v64, v74, v86, v64
	;;#ASMEND
	;;#ASMSTART
	v_dot2_f32_f16 v64, v75, v87, v64
	;;#ASMEND
	;;#ASMSTART
	v_dot2_f32_f16 v64, v76, v88, v64
	;;#ASMEND
	;;#ASMSTART
	v_dot2_f32_f16 v63, v73, v89, v63
	;;#ASMEND
	;;#ASMSTART
	v_dot2_f32_f16 v63, v74, v90, v63
	;;#ASMEND
	;;#ASMSTART
	v_dot2_f32_f16 v63, v75, v91, v63
	;;#ASMEND
	;;#ASMSTART
	v_dot2_f32_f16 v63, v76, v92, v63
	;;#ASMEND
	;;#ASMSTART
	v_dot2_f32_f16 v66, v77, v85, v66
	;;#ASMEND
	;;#ASMSTART
	v_dot2_f32_f16 v66, v78, v86, v66
	;;#ASMEND
	;;#ASMSTART
	v_dot2_f32_f16 v66, v79, v87, v66
	;;#ASMEND
	;;#ASMSTART
	v_dot2_f32_f16 v66, v80, v88, v66
	;;#ASMEND
	;;#ASMSTART
	v_dot2_f32_f16 v65, v77, v89, v65
	;;#ASMEND
	;;#ASMSTART
	v_dot2_f32_f16 v65, v78, v90, v65
	;;#ASMEND
	;;#ASMSTART
	v_dot2_f32_f16 v65, v79, v91, v65
	;;#ASMEND
	;;#ASMSTART
	v_dot2_f32_f16 v65, v80, v92, v65
	;;#ASMEND
	;;#ASMSTART
	v_dot2_f32_f16 v68, v81, v85, v68
	;;#ASMEND
	;;#ASMSTART
	v_dot2_f32_f16 v68, v82, v86, v68
	;;#ASMEND
	;;#ASMSTART
	v_dot2_f32_f16 v68, v83, v87, v68
	;;#ASMEND
	;;#ASMSTART
	v_dot2_f32_f16 v68, v84, v88, v68
	;;#ASMEND
	;;#ASMSTART
	v_dot2_f32_f16 v67, v81, v89, v67
	;;#ASMEND
	;;#ASMSTART
	v_dot2_f32_f16 v67, v82, v90, v67
	;;#ASMEND
	;;#ASMSTART
	v_dot2_f32_f16 v67, v83, v91, v67
	;;#ASMEND
	;;#ASMSTART
	v_dot2_f32_f16 v67, v84, v92, v67
	;;#ASMEND
	ds_read_b128 v[69:72], v34 offset:80
	ds_read_b128 v[73:76], v34 offset:4688
	ds_read_b128 v[77:80], v34 offset:9296
	ds_read_b128 v[81:84], v34 offset:13904
	ds_read_b128 v[85:88], v23 offset:592
	ds_read_b128 v[89:92], v23 offset:1744
	s_waitcnt lgkmcnt(1)
	;;#ASMSTART
	v_dot2_f32_f16 v18, v69, v85, v18
	;;#ASMEND
	;;#ASMSTART
	v_dot2_f32_f16 v18, v70, v86, v18
	;;#ASMEND
	;;#ASMSTART
	v_dot2_f32_f16 v18, v71, v87, v18
	;;#ASMEND
	;;#ASMSTART
	v_dot2_f32_f16 v18, v72, v88, v18
	;;#ASMEND
	s_waitcnt lgkmcnt(0)
	;;#ASMSTART
	v_dot2_f32_f16 v19, v69, v89, v19
	;;#ASMEND
	;;#ASMSTART
	v_dot2_f32_f16 v19, v70, v90, v19
	;;#ASMEND
	;; [unrolled: 3-line block ×28, first 2 shown]
	ds_read_b128 v[69:72], v34 offset:96
	ds_read_b128 v[73:76], v34 offset:4704
	;; [unrolled: 1-line block ×6, first 2 shown]
	s_waitcnt lgkmcnt(1)
	;;#ASMSTART
	v_dot2_f32_f16 v18, v69, v85, v18
	;;#ASMEND
	;;#ASMSTART
	v_dot2_f32_f16 v18, v70, v86, v18
	;;#ASMEND
	;; [unrolled: 3-line block ×4, first 2 shown]
	s_waitcnt lgkmcnt(0)
	;;#ASMSTART
	v_dot2_f32_f16 v19, v69, v89, v19
	;;#ASMEND
	;;#ASMSTART
	v_dot2_f32_f16 v19, v70, v90, v19
	;;#ASMEND
	;; [unrolled: 3-line block ×28, first 2 shown]
	ds_read_b128 v[69:72], v34 offset:112
	ds_read_b128 v[73:76], v34 offset:4720
	;; [unrolled: 1-line block ×6, first 2 shown]
	s_waitcnt lgkmcnt(1)
	;;#ASMSTART
	v_dot2_f32_f16 v18, v69, v85, v18
	;;#ASMEND
	;;#ASMSTART
	v_dot2_f32_f16 v18, v70, v86, v18
	;;#ASMEND
	;; [unrolled: 3-line block ×4, first 2 shown]
	s_waitcnt lgkmcnt(0)
	;;#ASMSTART
	v_dot2_f32_f16 v19, v69, v89, v19
	;;#ASMEND
	;;#ASMSTART
	v_dot2_f32_f16 v19, v70, v90, v19
	;;#ASMEND
	;; [unrolled: 3-line block ×28, first 2 shown]
	s_barrier
	global_load_dwordx4 v[69:72], v[1:2], off offset:640
	s_waitcnt vmcnt(0)
	ds_write_b128 v32, v[69:72]
	global_load_dwordx4 v[69:72], v[3:4], off offset:640
	s_waitcnt vmcnt(0)
	ds_write_b128 v33, v[69:72]
	s_waitcnt lgkmcnt(0)
	s_barrier
	ds_read_b128 v[69:72], v34
	ds_read_b128 v[73:76], v34 offset:4608
	ds_read_b128 v[77:80], v34 offset:9216
	;; [unrolled: 1-line block ×5, first 2 shown]
	s_waitcnt lgkmcnt(1)
	;;#ASMSTART
	v_dot2_f32_f16 v18, v69, v85, v18
	;;#ASMEND
	;;#ASMSTART
	v_dot2_f32_f16 v18, v70, v86, v18
	;;#ASMEND
	;; [unrolled: 3-line block ×4, first 2 shown]
	s_waitcnt lgkmcnt(0)
	;;#ASMSTART
	v_dot2_f32_f16 v19, v69, v89, v19
	;;#ASMEND
	;;#ASMSTART
	v_dot2_f32_f16 v19, v70, v90, v19
	;;#ASMEND
	;;#ASMSTART
	v_dot2_f32_f16 v19, v71, v91, v19
	;;#ASMEND
	;;#ASMSTART
	v_dot2_f32_f16 v19, v72, v92, v19
	;;#ASMEND
	;;#ASMSTART
	v_dot2_f32_f16 v64, v73, v85, v64
	;;#ASMEND
	;;#ASMSTART
	v_dot2_f32_f16 v64, v74, v86, v64
	;;#ASMEND
	;;#ASMSTART
	v_dot2_f32_f16 v64, v75, v87, v64
	;;#ASMEND
	;;#ASMSTART
	v_dot2_f32_f16 v64, v76, v88, v64
	;;#ASMEND
	;;#ASMSTART
	v_dot2_f32_f16 v63, v73, v89, v63
	;;#ASMEND
	;;#ASMSTART
	v_dot2_f32_f16 v63, v74, v90, v63
	;;#ASMEND
	;;#ASMSTART
	v_dot2_f32_f16 v63, v75, v91, v63
	;;#ASMEND
	;;#ASMSTART
	v_dot2_f32_f16 v63, v76, v92, v63
	;;#ASMEND
	;;#ASMSTART
	v_dot2_f32_f16 v66, v77, v85, v66
	;;#ASMEND
	;;#ASMSTART
	v_dot2_f32_f16 v66, v78, v86, v66
	;;#ASMEND
	;;#ASMSTART
	v_dot2_f32_f16 v66, v79, v87, v66
	;;#ASMEND
	;;#ASMSTART
	v_dot2_f32_f16 v66, v80, v88, v66
	;;#ASMEND
	;;#ASMSTART
	v_dot2_f32_f16 v65, v77, v89, v65
	;;#ASMEND
	;;#ASMSTART
	v_dot2_f32_f16 v65, v78, v90, v65
	;;#ASMEND
	;;#ASMSTART
	v_dot2_f32_f16 v65, v79, v91, v65
	;;#ASMEND
	;;#ASMSTART
	v_dot2_f32_f16 v65, v80, v92, v65
	;;#ASMEND
	;;#ASMSTART
	v_dot2_f32_f16 v68, v81, v85, v68
	;;#ASMEND
	;;#ASMSTART
	v_dot2_f32_f16 v68, v82, v86, v68
	;;#ASMEND
	;;#ASMSTART
	v_dot2_f32_f16 v68, v83, v87, v68
	;;#ASMEND
	;;#ASMSTART
	v_dot2_f32_f16 v68, v84, v88, v68
	;;#ASMEND
	;;#ASMSTART
	v_dot2_f32_f16 v67, v81, v89, v67
	;;#ASMEND
	;;#ASMSTART
	v_dot2_f32_f16 v67, v82, v90, v67
	;;#ASMEND
	;;#ASMSTART
	v_dot2_f32_f16 v67, v83, v91, v67
	;;#ASMEND
	;;#ASMSTART
	v_dot2_f32_f16 v67, v84, v92, v67
	;;#ASMEND
	ds_read_b128 v[69:72], v34 offset:16
	ds_read_b128 v[73:76], v34 offset:4624
	ds_read_b128 v[77:80], v34 offset:9232
	ds_read_b128 v[81:84], v34 offset:13840
	ds_read_b128 v[85:88], v23 offset:656
	ds_read_b128 v[89:92], v23 offset:1808
	s_waitcnt lgkmcnt(1)
	;;#ASMSTART
	v_dot2_f32_f16 v18, v69, v85, v18
	;;#ASMEND
	;;#ASMSTART
	v_dot2_f32_f16 v18, v70, v86, v18
	;;#ASMEND
	;; [unrolled: 3-line block ×4, first 2 shown]
	s_waitcnt lgkmcnt(0)
	;;#ASMSTART
	v_dot2_f32_f16 v19, v69, v89, v19
	;;#ASMEND
	;;#ASMSTART
	v_dot2_f32_f16 v19, v70, v90, v19
	;;#ASMEND
	;; [unrolled: 3-line block ×28, first 2 shown]
	ds_read_b128 v[69:72], v34 offset:32
	ds_read_b128 v[73:76], v34 offset:4640
	;; [unrolled: 1-line block ×6, first 2 shown]
	s_waitcnt lgkmcnt(1)
	;;#ASMSTART
	v_dot2_f32_f16 v18, v69, v85, v18
	;;#ASMEND
	;;#ASMSTART
	v_dot2_f32_f16 v18, v70, v86, v18
	;;#ASMEND
	;; [unrolled: 3-line block ×4, first 2 shown]
	s_waitcnt lgkmcnt(0)
	;;#ASMSTART
	v_dot2_f32_f16 v19, v69, v89, v19
	;;#ASMEND
	;;#ASMSTART
	v_dot2_f32_f16 v19, v70, v90, v19
	;;#ASMEND
	;; [unrolled: 3-line block ×28, first 2 shown]
	ds_read_b128 v[69:72], v34 offset:48
	ds_read_b128 v[73:76], v34 offset:4656
	;; [unrolled: 1-line block ×6, first 2 shown]
	s_waitcnt lgkmcnt(1)
	;;#ASMSTART
	v_dot2_f32_f16 v18, v69, v85, v18
	;;#ASMEND
	;;#ASMSTART
	v_dot2_f32_f16 v18, v70, v86, v18
	;;#ASMEND
	;; [unrolled: 3-line block ×4, first 2 shown]
	s_waitcnt lgkmcnt(0)
	;;#ASMSTART
	v_dot2_f32_f16 v19, v69, v89, v19
	;;#ASMEND
	;;#ASMSTART
	v_dot2_f32_f16 v19, v70, v90, v19
	;;#ASMEND
	;; [unrolled: 3-line block ×28, first 2 shown]
	ds_read_b128 v[69:72], v34 offset:64
	ds_read_b128 v[73:76], v34 offset:4672
	;; [unrolled: 1-line block ×6, first 2 shown]
	s_waitcnt lgkmcnt(1)
	;;#ASMSTART
	v_dot2_f32_f16 v18, v69, v85, v18
	;;#ASMEND
	;;#ASMSTART
	v_dot2_f32_f16 v18, v70, v86, v18
	;;#ASMEND
	;; [unrolled: 3-line block ×4, first 2 shown]
	s_waitcnt lgkmcnt(0)
	;;#ASMSTART
	v_dot2_f32_f16 v19, v69, v89, v19
	;;#ASMEND
	;;#ASMSTART
	v_dot2_f32_f16 v19, v70, v90, v19
	;;#ASMEND
	;; [unrolled: 3-line block ×28, first 2 shown]
	ds_read_b128 v[69:72], v34 offset:80
	ds_read_b128 v[73:76], v34 offset:4688
	;; [unrolled: 1-line block ×6, first 2 shown]
	s_waitcnt lgkmcnt(1)
	;;#ASMSTART
	v_dot2_f32_f16 v18, v69, v85, v18
	;;#ASMEND
	;;#ASMSTART
	v_dot2_f32_f16 v18, v70, v86, v18
	;;#ASMEND
	;;#ASMSTART
	v_dot2_f32_f16 v18, v71, v87, v18
	;;#ASMEND
	;;#ASMSTART
	v_dot2_f32_f16 v18, v72, v88, v18
	;;#ASMEND
	s_waitcnt lgkmcnt(0)
	;;#ASMSTART
	v_dot2_f32_f16 v19, v69, v89, v19
	;;#ASMEND
	;;#ASMSTART
	v_dot2_f32_f16 v19, v70, v90, v19
	;;#ASMEND
	;; [unrolled: 3-line block ×28, first 2 shown]
	ds_read_b128 v[69:72], v34 offset:96
	ds_read_b128 v[73:76], v34 offset:4704
	;; [unrolled: 1-line block ×6, first 2 shown]
	s_waitcnt lgkmcnt(1)
	;;#ASMSTART
	v_dot2_f32_f16 v18, v69, v85, v18
	;;#ASMEND
	;;#ASMSTART
	v_dot2_f32_f16 v18, v70, v86, v18
	;;#ASMEND
	;; [unrolled: 3-line block ×4, first 2 shown]
	s_waitcnt lgkmcnt(0)
	;;#ASMSTART
	v_dot2_f32_f16 v19, v69, v89, v19
	;;#ASMEND
	;;#ASMSTART
	v_dot2_f32_f16 v19, v70, v90, v19
	;;#ASMEND
	;; [unrolled: 3-line block ×28, first 2 shown]
	ds_read_b128 v[69:72], v34 offset:112
	ds_read_b128 v[73:76], v34 offset:4720
	;; [unrolled: 1-line block ×6, first 2 shown]
	s_waitcnt lgkmcnt(1)
	;;#ASMSTART
	v_dot2_f32_f16 v18, v69, v85, v18
	;;#ASMEND
	;;#ASMSTART
	v_dot2_f32_f16 v18, v70, v86, v18
	;;#ASMEND
	;; [unrolled: 3-line block ×4, first 2 shown]
	s_waitcnt lgkmcnt(0)
	;;#ASMSTART
	v_dot2_f32_f16 v19, v69, v89, v19
	;;#ASMEND
	;;#ASMSTART
	v_dot2_f32_f16 v19, v70, v90, v19
	;;#ASMEND
	;; [unrolled: 3-line block ×28, first 2 shown]
	s_barrier
	global_load_dwordx4 v[69:72], v[1:2], off offset:768
	s_waitcnt vmcnt(0)
	ds_write_b128 v32, v[69:72]
	global_load_dwordx4 v[69:72], v[3:4], off offset:768
	s_waitcnt vmcnt(0)
	ds_write_b128 v33, v[69:72]
	s_waitcnt lgkmcnt(0)
	s_barrier
	ds_read_b128 v[69:72], v34
	ds_read_b128 v[73:76], v34 offset:4608
	ds_read_b128 v[77:80], v34 offset:9216
	;; [unrolled: 1-line block ×5, first 2 shown]
	s_waitcnt lgkmcnt(1)
	;;#ASMSTART
	v_dot2_f32_f16 v18, v69, v85, v18
	;;#ASMEND
	;;#ASMSTART
	v_dot2_f32_f16 v18, v70, v86, v18
	;;#ASMEND
	;; [unrolled: 3-line block ×4, first 2 shown]
	s_waitcnt lgkmcnt(0)
	;;#ASMSTART
	v_dot2_f32_f16 v19, v69, v89, v19
	;;#ASMEND
	;;#ASMSTART
	v_dot2_f32_f16 v19, v70, v90, v19
	;;#ASMEND
	;; [unrolled: 3-line block ×28, first 2 shown]
	ds_read_b128 v[69:72], v34 offset:16
	ds_read_b128 v[73:76], v34 offset:4624
	;; [unrolled: 1-line block ×6, first 2 shown]
	s_waitcnt lgkmcnt(1)
	;;#ASMSTART
	v_dot2_f32_f16 v18, v69, v85, v18
	;;#ASMEND
	;;#ASMSTART
	v_dot2_f32_f16 v18, v70, v86, v18
	;;#ASMEND
	;; [unrolled: 3-line block ×4, first 2 shown]
	s_waitcnt lgkmcnt(0)
	;;#ASMSTART
	v_dot2_f32_f16 v19, v69, v89, v19
	;;#ASMEND
	;;#ASMSTART
	v_dot2_f32_f16 v19, v70, v90, v19
	;;#ASMEND
	;; [unrolled: 3-line block ×28, first 2 shown]
	ds_read_b128 v[69:72], v34 offset:32
	ds_read_b128 v[73:76], v34 offset:4640
	;; [unrolled: 1-line block ×6, first 2 shown]
	s_waitcnt lgkmcnt(1)
	;;#ASMSTART
	v_dot2_f32_f16 v18, v69, v85, v18
	;;#ASMEND
	;;#ASMSTART
	v_dot2_f32_f16 v18, v70, v86, v18
	;;#ASMEND
	;; [unrolled: 3-line block ×4, first 2 shown]
	s_waitcnt lgkmcnt(0)
	;;#ASMSTART
	v_dot2_f32_f16 v19, v69, v89, v19
	;;#ASMEND
	;;#ASMSTART
	v_dot2_f32_f16 v19, v70, v90, v19
	;;#ASMEND
	;; [unrolled: 3-line block ×28, first 2 shown]
	ds_read_b128 v[69:72], v34 offset:48
	ds_read_b128 v[73:76], v34 offset:4656
	;; [unrolled: 1-line block ×6, first 2 shown]
	s_waitcnt lgkmcnt(1)
	;;#ASMSTART
	v_dot2_f32_f16 v18, v69, v85, v18
	;;#ASMEND
	;;#ASMSTART
	v_dot2_f32_f16 v18, v70, v86, v18
	;;#ASMEND
	;; [unrolled: 3-line block ×4, first 2 shown]
	s_waitcnt lgkmcnt(0)
	;;#ASMSTART
	v_dot2_f32_f16 v19, v69, v89, v19
	;;#ASMEND
	;;#ASMSTART
	v_dot2_f32_f16 v19, v70, v90, v19
	;;#ASMEND
	;;#ASMSTART
	v_dot2_f32_f16 v19, v71, v91, v19
	;;#ASMEND
	;;#ASMSTART
	v_dot2_f32_f16 v19, v72, v92, v19
	;;#ASMEND
	;;#ASMSTART
	v_dot2_f32_f16 v64, v73, v85, v64
	;;#ASMEND
	;;#ASMSTART
	v_dot2_f32_f16 v64, v74, v86, v64
	;;#ASMEND
	;;#ASMSTART
	v_dot2_f32_f16 v64, v75, v87, v64
	;;#ASMEND
	;;#ASMSTART
	v_dot2_f32_f16 v64, v76, v88, v64
	;;#ASMEND
	;;#ASMSTART
	v_dot2_f32_f16 v63, v73, v89, v63
	;;#ASMEND
	;;#ASMSTART
	v_dot2_f32_f16 v63, v74, v90, v63
	;;#ASMEND
	;;#ASMSTART
	v_dot2_f32_f16 v63, v75, v91, v63
	;;#ASMEND
	;;#ASMSTART
	v_dot2_f32_f16 v63, v76, v92, v63
	;;#ASMEND
	;;#ASMSTART
	v_dot2_f32_f16 v66, v77, v85, v66
	;;#ASMEND
	;;#ASMSTART
	v_dot2_f32_f16 v66, v78, v86, v66
	;;#ASMEND
	;;#ASMSTART
	v_dot2_f32_f16 v66, v79, v87, v66
	;;#ASMEND
	;;#ASMSTART
	v_dot2_f32_f16 v66, v80, v88, v66
	;;#ASMEND
	;;#ASMSTART
	v_dot2_f32_f16 v65, v77, v89, v65
	;;#ASMEND
	;;#ASMSTART
	v_dot2_f32_f16 v65, v78, v90, v65
	;;#ASMEND
	;;#ASMSTART
	v_dot2_f32_f16 v65, v79, v91, v65
	;;#ASMEND
	;;#ASMSTART
	v_dot2_f32_f16 v65, v80, v92, v65
	;;#ASMEND
	;;#ASMSTART
	v_dot2_f32_f16 v68, v81, v85, v68
	;;#ASMEND
	;;#ASMSTART
	v_dot2_f32_f16 v68, v82, v86, v68
	;;#ASMEND
	;;#ASMSTART
	v_dot2_f32_f16 v68, v83, v87, v68
	;;#ASMEND
	;;#ASMSTART
	v_dot2_f32_f16 v68, v84, v88, v68
	;;#ASMEND
	;;#ASMSTART
	v_dot2_f32_f16 v67, v81, v89, v67
	;;#ASMEND
	;;#ASMSTART
	v_dot2_f32_f16 v67, v82, v90, v67
	;;#ASMEND
	;;#ASMSTART
	v_dot2_f32_f16 v67, v83, v91, v67
	;;#ASMEND
	;;#ASMSTART
	v_dot2_f32_f16 v67, v84, v92, v67
	;;#ASMEND
	ds_read_b128 v[69:72], v34 offset:64
	ds_read_b128 v[73:76], v34 offset:4672
	;; [unrolled: 1-line block ×6, first 2 shown]
	s_waitcnt lgkmcnt(1)
	;;#ASMSTART
	v_dot2_f32_f16 v18, v69, v85, v18
	;;#ASMEND
	;;#ASMSTART
	v_dot2_f32_f16 v18, v70, v86, v18
	;;#ASMEND
	;;#ASMSTART
	v_dot2_f32_f16 v18, v71, v87, v18
	;;#ASMEND
	;;#ASMSTART
	v_dot2_f32_f16 v18, v72, v88, v18
	;;#ASMEND
	s_waitcnt lgkmcnt(0)
	;;#ASMSTART
	v_dot2_f32_f16 v19, v69, v89, v19
	;;#ASMEND
	;;#ASMSTART
	v_dot2_f32_f16 v19, v70, v90, v19
	;;#ASMEND
	;; [unrolled: 3-line block ×28, first 2 shown]
	ds_read_b128 v[69:72], v34 offset:80
	ds_read_b128 v[73:76], v34 offset:4688
	;; [unrolled: 1-line block ×6, first 2 shown]
	s_waitcnt lgkmcnt(1)
	;;#ASMSTART
	v_dot2_f32_f16 v18, v69, v85, v18
	;;#ASMEND
	;;#ASMSTART
	v_dot2_f32_f16 v18, v70, v86, v18
	;;#ASMEND
	;; [unrolled: 3-line block ×4, first 2 shown]
	s_waitcnt lgkmcnt(0)
	;;#ASMSTART
	v_dot2_f32_f16 v19, v69, v89, v19
	;;#ASMEND
	;;#ASMSTART
	v_dot2_f32_f16 v19, v70, v90, v19
	;;#ASMEND
	;; [unrolled: 3-line block ×28, first 2 shown]
	ds_read_b128 v[69:72], v34 offset:96
	ds_read_b128 v[73:76], v34 offset:4704
	;; [unrolled: 1-line block ×6, first 2 shown]
	s_waitcnt lgkmcnt(1)
	;;#ASMSTART
	v_dot2_f32_f16 v18, v69, v85, v18
	;;#ASMEND
	;;#ASMSTART
	v_dot2_f32_f16 v18, v70, v86, v18
	;;#ASMEND
	;;#ASMSTART
	v_dot2_f32_f16 v18, v71, v87, v18
	;;#ASMEND
	;;#ASMSTART
	v_dot2_f32_f16 v18, v72, v88, v18
	;;#ASMEND
	s_waitcnt lgkmcnt(0)
	;;#ASMSTART
	v_dot2_f32_f16 v19, v69, v89, v19
	;;#ASMEND
	;;#ASMSTART
	v_dot2_f32_f16 v19, v70, v90, v19
	;;#ASMEND
	;; [unrolled: 3-line block ×28, first 2 shown]
	ds_read_b128 v[69:72], v34 offset:112
	ds_read_b128 v[73:76], v34 offset:4720
	ds_read_b128 v[77:80], v34 offset:9328
	ds_read_b128 v[81:84], v34 offset:13936
	ds_read_b128 v[85:88], v23 offset:880
	ds_read_b128 v[89:92], v23 offset:2032
	s_waitcnt lgkmcnt(1)
	;;#ASMSTART
	v_dot2_f32_f16 v18, v69, v85, v18
	;;#ASMEND
	;;#ASMSTART
	v_dot2_f32_f16 v18, v70, v86, v18
	;;#ASMEND
	;; [unrolled: 3-line block ×4, first 2 shown]
	s_waitcnt lgkmcnt(0)
	;;#ASMSTART
	v_dot2_f32_f16 v19, v69, v89, v19
	;;#ASMEND
	;;#ASMSTART
	v_dot2_f32_f16 v19, v70, v90, v19
	;;#ASMEND
	;;#ASMSTART
	v_dot2_f32_f16 v19, v71, v91, v19
	;;#ASMEND
	;;#ASMSTART
	v_dot2_f32_f16 v19, v72, v92, v19
	;;#ASMEND
	;;#ASMSTART
	v_dot2_f32_f16 v64, v73, v85, v64
	;;#ASMEND
	;;#ASMSTART
	v_dot2_f32_f16 v64, v74, v86, v64
	;;#ASMEND
	;;#ASMSTART
	v_dot2_f32_f16 v64, v75, v87, v64
	;;#ASMEND
	;;#ASMSTART
	v_dot2_f32_f16 v64, v76, v88, v64
	;;#ASMEND
	;;#ASMSTART
	v_dot2_f32_f16 v63, v73, v89, v63
	;;#ASMEND
	;;#ASMSTART
	v_dot2_f32_f16 v63, v74, v90, v63
	;;#ASMEND
	;;#ASMSTART
	v_dot2_f32_f16 v63, v75, v91, v63
	;;#ASMEND
	;;#ASMSTART
	v_dot2_f32_f16 v63, v76, v92, v63
	;;#ASMEND
	;;#ASMSTART
	v_dot2_f32_f16 v66, v77, v85, v66
	;;#ASMEND
	;;#ASMSTART
	v_dot2_f32_f16 v66, v78, v86, v66
	;;#ASMEND
	;;#ASMSTART
	v_dot2_f32_f16 v66, v79, v87, v66
	;;#ASMEND
	;;#ASMSTART
	v_dot2_f32_f16 v66, v80, v88, v66
	;;#ASMEND
	;;#ASMSTART
	v_dot2_f32_f16 v65, v77, v89, v65
	;;#ASMEND
	;;#ASMSTART
	v_dot2_f32_f16 v65, v78, v90, v65
	;;#ASMEND
	;;#ASMSTART
	v_dot2_f32_f16 v65, v79, v91, v65
	;;#ASMEND
	;;#ASMSTART
	v_dot2_f32_f16 v65, v80, v92, v65
	;;#ASMEND
	;;#ASMSTART
	v_dot2_f32_f16 v68, v81, v85, v68
	;;#ASMEND
	;;#ASMSTART
	v_dot2_f32_f16 v68, v82, v86, v68
	;;#ASMEND
	;;#ASMSTART
	v_dot2_f32_f16 v68, v83, v87, v68
	;;#ASMEND
	;;#ASMSTART
	v_dot2_f32_f16 v68, v84, v88, v68
	;;#ASMEND
	;;#ASMSTART
	v_dot2_f32_f16 v67, v81, v89, v67
	;;#ASMEND
	;;#ASMSTART
	v_dot2_f32_f16 v67, v82, v90, v67
	;;#ASMEND
	;;#ASMSTART
	v_dot2_f32_f16 v67, v83, v91, v67
	;;#ASMEND
	;;#ASMSTART
	v_dot2_f32_f16 v67, v84, v92, v67
	;;#ASMEND
	s_barrier
	global_load_dwordx4 v[69:72], v[1:2], off offset:896
	s_waitcnt vmcnt(0)
	ds_write_b128 v32, v[69:72]
	global_load_dwordx4 v[69:72], v[3:4], off offset:896
	s_waitcnt vmcnt(0)
	ds_write_b128 v33, v[69:72]
	s_waitcnt lgkmcnt(0)
	s_barrier
	ds_read_b128 v[69:72], v34
	ds_read_b128 v[73:76], v34 offset:4608
	ds_read_b128 v[77:80], v34 offset:9216
	;; [unrolled: 1-line block ×5, first 2 shown]
	s_waitcnt lgkmcnt(1)
	;;#ASMSTART
	v_dot2_f32_f16 v18, v69, v85, v18
	;;#ASMEND
	;;#ASMSTART
	v_dot2_f32_f16 v18, v70, v86, v18
	;;#ASMEND
	;;#ASMSTART
	v_dot2_f32_f16 v18, v71, v87, v18
	;;#ASMEND
	;;#ASMSTART
	v_dot2_f32_f16 v18, v72, v88, v18
	;;#ASMEND
	s_waitcnt lgkmcnt(0)
	;;#ASMSTART
	v_dot2_f32_f16 v19, v69, v89, v19
	;;#ASMEND
	;;#ASMSTART
	v_dot2_f32_f16 v19, v70, v90, v19
	;;#ASMEND
	;; [unrolled: 3-line block ×28, first 2 shown]
	ds_read_b128 v[69:72], v34 offset:16
	ds_read_b128 v[73:76], v34 offset:4624
	;; [unrolled: 1-line block ×6, first 2 shown]
	s_waitcnt lgkmcnt(1)
	;;#ASMSTART
	v_dot2_f32_f16 v18, v69, v85, v18
	;;#ASMEND
	;;#ASMSTART
	v_dot2_f32_f16 v18, v70, v86, v18
	;;#ASMEND
	;; [unrolled: 3-line block ×4, first 2 shown]
	s_waitcnt lgkmcnt(0)
	;;#ASMSTART
	v_dot2_f32_f16 v19, v69, v89, v19
	;;#ASMEND
	;;#ASMSTART
	v_dot2_f32_f16 v19, v70, v90, v19
	;;#ASMEND
	;; [unrolled: 3-line block ×28, first 2 shown]
	ds_read_b128 v[69:72], v34 offset:32
	ds_read_b128 v[73:76], v34 offset:4640
	;; [unrolled: 1-line block ×6, first 2 shown]
	s_waitcnt lgkmcnt(1)
	;;#ASMSTART
	v_dot2_f32_f16 v18, v69, v85, v18
	;;#ASMEND
	;;#ASMSTART
	v_dot2_f32_f16 v18, v70, v86, v18
	;;#ASMEND
	;; [unrolled: 3-line block ×4, first 2 shown]
	s_waitcnt lgkmcnt(0)
	;;#ASMSTART
	v_dot2_f32_f16 v19, v69, v89, v19
	;;#ASMEND
	;;#ASMSTART
	v_dot2_f32_f16 v19, v70, v90, v19
	;;#ASMEND
	;; [unrolled: 3-line block ×28, first 2 shown]
	ds_read_b128 v[69:72], v34 offset:48
	ds_read_b128 v[73:76], v34 offset:4656
	;; [unrolled: 1-line block ×6, first 2 shown]
	s_waitcnt lgkmcnt(1)
	;;#ASMSTART
	v_dot2_f32_f16 v18, v69, v85, v18
	;;#ASMEND
	;;#ASMSTART
	v_dot2_f32_f16 v18, v70, v86, v18
	;;#ASMEND
	;; [unrolled: 3-line block ×4, first 2 shown]
	s_waitcnt lgkmcnt(0)
	;;#ASMSTART
	v_dot2_f32_f16 v19, v69, v89, v19
	;;#ASMEND
	;;#ASMSTART
	v_dot2_f32_f16 v19, v70, v90, v19
	;;#ASMEND
	;; [unrolled: 3-line block ×28, first 2 shown]
	ds_read_b128 v[69:72], v34 offset:64
	ds_read_b128 v[73:76], v34 offset:4672
	;; [unrolled: 1-line block ×6, first 2 shown]
	s_waitcnt lgkmcnt(1)
	;;#ASMSTART
	v_dot2_f32_f16 v18, v69, v85, v18
	;;#ASMEND
	;;#ASMSTART
	v_dot2_f32_f16 v18, v70, v86, v18
	;;#ASMEND
	;; [unrolled: 3-line block ×4, first 2 shown]
	s_waitcnt lgkmcnt(0)
	;;#ASMSTART
	v_dot2_f32_f16 v19, v69, v89, v19
	;;#ASMEND
	;;#ASMSTART
	v_dot2_f32_f16 v19, v70, v90, v19
	;;#ASMEND
	;; [unrolled: 3-line block ×28, first 2 shown]
	ds_read_b128 v[69:72], v34 offset:80
	ds_read_b128 v[73:76], v34 offset:4688
	;; [unrolled: 1-line block ×6, first 2 shown]
	s_waitcnt lgkmcnt(1)
	;;#ASMSTART
	v_dot2_f32_f16 v18, v69, v85, v18
	;;#ASMEND
	;;#ASMSTART
	v_dot2_f32_f16 v18, v70, v86, v18
	;;#ASMEND
	;; [unrolled: 3-line block ×4, first 2 shown]
	s_waitcnt lgkmcnt(0)
	;;#ASMSTART
	v_dot2_f32_f16 v19, v69, v89, v19
	;;#ASMEND
	;;#ASMSTART
	v_dot2_f32_f16 v19, v70, v90, v19
	;;#ASMEND
	;; [unrolled: 3-line block ×28, first 2 shown]
	ds_read_b128 v[69:72], v34 offset:96
	ds_read_b128 v[73:76], v34 offset:4704
	;; [unrolled: 1-line block ×6, first 2 shown]
	s_waitcnt lgkmcnt(1)
	;;#ASMSTART
	v_dot2_f32_f16 v18, v69, v85, v18
	;;#ASMEND
	;;#ASMSTART
	v_dot2_f32_f16 v18, v70, v86, v18
	;;#ASMEND
	;; [unrolled: 3-line block ×4, first 2 shown]
	s_waitcnt lgkmcnt(0)
	;;#ASMSTART
	v_dot2_f32_f16 v19, v69, v89, v19
	;;#ASMEND
	;;#ASMSTART
	v_dot2_f32_f16 v19, v70, v90, v19
	;;#ASMEND
	;; [unrolled: 3-line block ×28, first 2 shown]
	ds_read_b128 v[69:72], v34 offset:112
	ds_read_b128 v[73:76], v34 offset:4720
	;; [unrolled: 1-line block ×6, first 2 shown]
	s_waitcnt lgkmcnt(1)
	;;#ASMSTART
	v_dot2_f32_f16 v18, v69, v85, v18
	;;#ASMEND
	;;#ASMSTART
	v_dot2_f32_f16 v18, v70, v86, v18
	;;#ASMEND
	;; [unrolled: 3-line block ×4, first 2 shown]
	s_waitcnt lgkmcnt(0)
	;;#ASMSTART
	v_dot2_f32_f16 v19, v69, v89, v19
	;;#ASMEND
	;;#ASMSTART
	v_dot2_f32_f16 v19, v70, v90, v19
	;;#ASMEND
	;; [unrolled: 3-line block ×28, first 2 shown]
	s_barrier
	global_load_dwordx4 v[69:72], v[1:2], off offset:1024
	s_waitcnt vmcnt(0)
	ds_write_b128 v32, v[69:72]
	global_load_dwordx4 v[1:4], v[3:4], off offset:1024
	s_waitcnt vmcnt(0)
	ds_write_b128 v33, v[1:4]
	s_waitcnt lgkmcnt(0)
	s_barrier
	ds_read_b128 v[1:4], v34
	ds_read_b128 v[69:72], v34 offset:4608
	ds_read_b128 v[73:76], v34 offset:9216
	;; [unrolled: 1-line block ×5, first 2 shown]
	s_waitcnt lgkmcnt(1)
	;;#ASMSTART
	v_dot2_f32_f16 v18, v1, v81, v18
	;;#ASMEND
	;;#ASMSTART
	v_dot2_f32_f16 v18, v2, v82, v18
	;;#ASMEND
	;; [unrolled: 3-line block ×4, first 2 shown]
	s_waitcnt lgkmcnt(0)
	;;#ASMSTART
	v_dot2_f32_f16 v19, v1, v85, v19
	;;#ASMEND
	;;#ASMSTART
	v_dot2_f32_f16 v19, v2, v86, v19
	;;#ASMEND
	;; [unrolled: 3-line block ×28, first 2 shown]
	ds_read_b128 v[1:4], v34 offset:16
	ds_read_b128 v[69:72], v34 offset:4624
	;; [unrolled: 1-line block ×6, first 2 shown]
	s_waitcnt lgkmcnt(1)
	;;#ASMSTART
	v_dot2_f32_f16 v18, v1, v81, v18
	;;#ASMEND
	;;#ASMSTART
	v_dot2_f32_f16 v18, v2, v82, v18
	;;#ASMEND
	;; [unrolled: 3-line block ×4, first 2 shown]
	s_waitcnt lgkmcnt(0)
	;;#ASMSTART
	v_dot2_f32_f16 v19, v1, v85, v19
	;;#ASMEND
	;;#ASMSTART
	v_dot2_f32_f16 v19, v2, v86, v19
	;;#ASMEND
	;; [unrolled: 3-line block ×28, first 2 shown]
	ds_read_b128 v[1:4], v34 offset:32
	ds_read_b128 v[69:72], v34 offset:4640
	;; [unrolled: 1-line block ×6, first 2 shown]
	s_waitcnt lgkmcnt(1)
	;;#ASMSTART
	v_dot2_f32_f16 v18, v1, v81, v18
	;;#ASMEND
	;;#ASMSTART
	v_dot2_f32_f16 v18, v2, v82, v18
	;;#ASMEND
	;; [unrolled: 3-line block ×4, first 2 shown]
	s_waitcnt lgkmcnt(0)
	;;#ASMSTART
	v_dot2_f32_f16 v19, v1, v85, v19
	;;#ASMEND
	;;#ASMSTART
	v_dot2_f32_f16 v19, v2, v86, v19
	;;#ASMEND
	;; [unrolled: 3-line block ×28, first 2 shown]
	ds_read_b128 v[1:4], v34 offset:48
	ds_read_b128 v[69:72], v34 offset:4656
	;; [unrolled: 1-line block ×6, first 2 shown]
	s_waitcnt lgkmcnt(1)
	;;#ASMSTART
	v_dot2_f32_f16 v18, v1, v81, v18
	;;#ASMEND
	;;#ASMSTART
	v_dot2_f32_f16 v18, v2, v82, v18
	;;#ASMEND
	;;#ASMSTART
	v_dot2_f32_f16 v18, v3, v83, v18
	;;#ASMEND
	;;#ASMSTART
	v_dot2_f32_f16 v18, v4, v84, v18
	;;#ASMEND
	s_waitcnt lgkmcnt(0)
	;;#ASMSTART
	v_dot2_f32_f16 v19, v1, v85, v19
	;;#ASMEND
	;;#ASMSTART
	v_dot2_f32_f16 v19, v2, v86, v19
	;;#ASMEND
	;; [unrolled: 3-line block ×28, first 2 shown]
	ds_read_b128 v[1:4], v34 offset:64
	ds_read_b128 v[69:72], v34 offset:4672
	;; [unrolled: 1-line block ×6, first 2 shown]
	s_waitcnt lgkmcnt(1)
	;;#ASMSTART
	v_dot2_f32_f16 v18, v1, v81, v18
	;;#ASMEND
	;;#ASMSTART
	v_dot2_f32_f16 v18, v2, v82, v18
	;;#ASMEND
	;; [unrolled: 3-line block ×4, first 2 shown]
	s_waitcnt lgkmcnt(0)
	;;#ASMSTART
	v_dot2_f32_f16 v19, v1, v85, v19
	;;#ASMEND
	;;#ASMSTART
	v_dot2_f32_f16 v19, v2, v86, v19
	;;#ASMEND
	;; [unrolled: 3-line block ×28, first 2 shown]
	ds_read_b128 v[1:4], v34 offset:80
	ds_read_b128 v[69:72], v34 offset:4688
	;; [unrolled: 1-line block ×6, first 2 shown]
	s_waitcnt lgkmcnt(1)
	;;#ASMSTART
	v_dot2_f32_f16 v18, v1, v81, v18
	;;#ASMEND
	;;#ASMSTART
	v_dot2_f32_f16 v18, v2, v82, v18
	;;#ASMEND
	;; [unrolled: 3-line block ×4, first 2 shown]
	s_waitcnt lgkmcnt(0)
	;;#ASMSTART
	v_dot2_f32_f16 v19, v1, v85, v19
	;;#ASMEND
	;;#ASMSTART
	v_dot2_f32_f16 v19, v2, v86, v19
	;;#ASMEND
	;;#ASMSTART
	v_dot2_f32_f16 v19, v3, v87, v19
	;;#ASMEND
	;;#ASMSTART
	v_dot2_f32_f16 v19, v4, v88, v19
	;;#ASMEND
	;;#ASMSTART
	v_dot2_f32_f16 v64, v69, v81, v64
	;;#ASMEND
	;;#ASMSTART
	v_dot2_f32_f16 v64, v70, v82, v64
	;;#ASMEND
	;;#ASMSTART
	v_dot2_f32_f16 v64, v71, v83, v64
	;;#ASMEND
	;;#ASMSTART
	v_dot2_f32_f16 v64, v72, v84, v64
	;;#ASMEND
	;;#ASMSTART
	v_dot2_f32_f16 v63, v69, v85, v63
	;;#ASMEND
	;;#ASMSTART
	v_dot2_f32_f16 v63, v70, v86, v63
	;;#ASMEND
	;;#ASMSTART
	v_dot2_f32_f16 v63, v71, v87, v63
	;;#ASMEND
	;;#ASMSTART
	v_dot2_f32_f16 v63, v72, v88, v63
	;;#ASMEND
	;;#ASMSTART
	v_dot2_f32_f16 v66, v73, v81, v66
	;;#ASMEND
	;;#ASMSTART
	v_dot2_f32_f16 v66, v74, v82, v66
	;;#ASMEND
	;;#ASMSTART
	v_dot2_f32_f16 v66, v75, v83, v66
	;;#ASMEND
	;;#ASMSTART
	v_dot2_f32_f16 v66, v76, v84, v66
	;;#ASMEND
	;;#ASMSTART
	v_dot2_f32_f16 v65, v73, v85, v65
	;;#ASMEND
	;;#ASMSTART
	v_dot2_f32_f16 v65, v74, v86, v65
	;;#ASMEND
	;;#ASMSTART
	v_dot2_f32_f16 v65, v75, v87, v65
	;;#ASMEND
	;;#ASMSTART
	v_dot2_f32_f16 v65, v76, v88, v65
	;;#ASMEND
	;;#ASMSTART
	v_dot2_f32_f16 v68, v77, v81, v68
	;;#ASMEND
	;;#ASMSTART
	v_dot2_f32_f16 v68, v78, v82, v68
	;;#ASMEND
	;;#ASMSTART
	v_dot2_f32_f16 v68, v79, v83, v68
	;;#ASMEND
	;;#ASMSTART
	v_dot2_f32_f16 v68, v80, v84, v68
	;;#ASMEND
	;;#ASMSTART
	v_dot2_f32_f16 v67, v77, v85, v67
	;;#ASMEND
	;;#ASMSTART
	v_dot2_f32_f16 v67, v78, v86, v67
	;;#ASMEND
	;;#ASMSTART
	v_dot2_f32_f16 v67, v79, v87, v67
	;;#ASMEND
	;;#ASMSTART
	v_dot2_f32_f16 v67, v80, v88, v67
	;;#ASMEND
	ds_read_b128 v[1:4], v34 offset:96
	ds_read_b128 v[69:72], v34 offset:4704
	;; [unrolled: 1-line block ×6, first 2 shown]
	s_waitcnt lgkmcnt(1)
	;;#ASMSTART
	v_dot2_f32_f16 v18, v1, v81, v18
	;;#ASMEND
	;;#ASMSTART
	v_dot2_f32_f16 v18, v2, v82, v18
	;;#ASMEND
	;; [unrolled: 3-line block ×4, first 2 shown]
	s_waitcnt lgkmcnt(0)
	;;#ASMSTART
	v_dot2_f32_f16 v19, v1, v85, v19
	;;#ASMEND
	;;#ASMSTART
	v_dot2_f32_f16 v19, v2, v86, v19
	;;#ASMEND
	;; [unrolled: 3-line block ×28, first 2 shown]
	ds_read_b128 v[1:4], v34 offset:112
	ds_read_b128 v[69:72], v34 offset:4720
	;; [unrolled: 1-line block ×6, first 2 shown]
	s_waitcnt lgkmcnt(1)
	;;#ASMSTART
	v_dot2_f32_f16 v18, v1, v81, v18
	;;#ASMEND
	;;#ASMSTART
	v_dot2_f32_f16 v18, v2, v82, v18
	;;#ASMEND
	;; [unrolled: 3-line block ×4, first 2 shown]
	s_waitcnt lgkmcnt(0)
	;;#ASMSTART
	v_dot2_f32_f16 v19, v1, v85, v19
	;;#ASMEND
	;;#ASMSTART
	v_dot2_f32_f16 v19, v2, v86, v19
	;;#ASMEND
	;; [unrolled: 3-line block ×15, first 2 shown]
	v_cndmask_b32_e32 v2, v24, v30, vcc
	v_cmp_lt_i32_e32 vcc, v29, v25
	;;#ASMSTART
	v_dot2_f32_f16 v66, v76, v84, v66
	;;#ASMEND
	;;#ASMSTART
	v_dot2_f32_f16 v65, v73, v85, v65
	;;#ASMEND
	v_lshlrev_b32_e32 v3, 2, v2
	v_cndmask_b32_e32 v2, v24, v29, vcc
	v_cmp_lt_i32_e32 vcc, v28, v25
	;;#ASMSTART
	v_dot2_f32_f16 v65, v74, v86, v65
	;;#ASMEND
	v_lshlrev_b32_e32 v4, 2, v2
	v_cndmask_b32_e32 v2, v24, v28, vcc
	v_cmp_lt_i32_e32 vcc, v27, v25
	;; [unrolled: 6-line block ×3, first 2 shown]
	;;#ASMSTART
	v_dot2_f32_f16 v65, v76, v88, v65
	;;#ASMEND
	;;#ASMSTART
	v_dot2_f32_f16 v68, v77, v81, v68
	;;#ASMEND
	v_add_u32_e32 v1, s6, v13
	v_lshlrev_b32_e32 v70, 2, v2
	v_cndmask_b32_e32 v2, v24, v26, vcc
	;;#ASMSTART
	v_dot2_f32_f16 v68, v78, v82, v68
	;;#ASMEND
	v_lshlrev_b32_e32 v71, 2, v2
	v_ashrrev_i32_e32 v2, 31, v1
	;;#ASMSTART
	v_dot2_f32_f16 v68, v79, v83, v68
	;;#ASMEND
	v_lshlrev_b64 v[1:2], 1, v[1:2]
	;;#ASMSTART
	v_dot2_f32_f16 v68, v80, v84, v68
	;;#ASMEND
	;;#ASMSTART
	v_dot2_f32_f16 v67, v77, v85, v67
	;;#ASMEND
	;; [unrolled: 3-line block ×3, first 2 shown]
	v_add_co_u32_e32 v1, vcc, s26, v1
	;;#ASMSTART
	v_dot2_f32_f16 v67, v79, v87, v67
	;;#ASMEND
	v_addc_co_u32_e32 v2, vcc, v42, v2, vcc
	;;#ASMSTART
	v_dot2_f32_f16 v67, v80, v88, v67
	;;#ASMEND
	global_load_ushort v72, v[1:2], off
	global_load_ushort v74, v[1:2], off offset:64
	s_waitcnt vmcnt(1)
	v_cvt_f32_f16_e32 v72, v72
	s_waitcnt vmcnt(0)
	v_cvt_f32_f16_e32 v74, v74
	v_add_f32_e32 v73, v18, v72
	v_add_f32_e32 v64, v64, v74
	;; [unrolled: 1-line block ×4, first 2 shown]
	v_max3_f32 v18, v52, v18, v75
	global_load_ushort v75, v[1:2], off offset:128
	v_add_f32_e32 v72, v19, v72
	global_load_ushort v1, v[1:2], off offset:192
	v_add_f32_e32 v74, v63, v74
	v_add_f32_e32 v19, 0x40051340, v74
	s_waitcnt vmcnt(0)
	s_barrier
	v_cvt_f32_f16_e32 v75, v75
	v_cvt_f32_f16_e32 v1, v1
	v_add_f32_e32 v66, v66, v75
	v_add_f32_e32 v76, 0x40051340, v66
	;; [unrolled: 1-line block ×4, first 2 shown]
	v_max3_f32 v2, v18, v76, v2
	ds_bpermute_b32 v18, v3, v2
	v_add_f32_e32 v65, v65, v75
	v_add_f32_e32 v67, v67, v1
	;; [unrolled: 1-line block ×3, first 2 shown]
	s_waitcnt lgkmcnt(0)
	v_max_f32_e32 v18, v18, v18
	v_max_f32_e32 v2, v2, v18
	ds_bpermute_b32 v18, v4, v2
	s_waitcnt lgkmcnt(0)
	v_max_f32_e32 v18, v18, v18
	v_max_f32_e32 v2, v2, v18
	ds_bpermute_b32 v18, v69, v2
	;; [unrolled: 4-line block ×4, first 2 shown]
	s_waitcnt lgkmcnt(0)
	v_max_f32_e32 v18, v18, v18
	v_max_f32_e32 v18, v2, v18
	v_add_f32_e32 v2, 0x40051340, v72
	v_max3_f32 v2, v61, v2, v19
	v_add_f32_e32 v19, 0x40051340, v65
	v_max3_f32 v1, v2, v19, v1
	ds_bpermute_b32 v2, v3, v1
	v_sub_f32_e32 v63, v52, v18
	s_waitcnt lgkmcnt(0)
	v_max_f32_e32 v2, v2, v2
	v_max_f32_e32 v1, v1, v2
	ds_bpermute_b32 v2, v4, v1
	s_waitcnt lgkmcnt(0)
	v_max_f32_e32 v2, v2, v2
	v_max_f32_e32 v1, v1, v2
	ds_bpermute_b32 v2, v69, v1
	;; [unrolled: 4-line block ×4, first 2 shown]
	s_waitcnt lgkmcnt(0)
	v_max_f32_e32 v2, v2, v2
	v_max_f32_e32 v19, v1, v2
	v_sub_f32_e32 v1, v73, v18
	v_mul_f32_e32 v2, 0x3fb8aa3b, v1
	v_fma_f32 v3, v1, s12, -v2
	v_rndne_f32_e32 v4, v2
	v_fmac_f32_e32 v3, 0x32a5705f, v1
	v_sub_f32_e32 v2, v2, v4
	v_add_f32_e32 v2, v2, v3
	v_exp_f32_e32 v2, v2
	v_cvt_i32_f32_e32 v3, v4
	v_cmp_ngt_f32_e32 vcc, s13, v1
	v_ldexp_f32 v2, v2, v3
	v_sub_f32_e32 v3, v64, v18
	v_mul_f32_e32 v4, 0x3fb8aa3b, v3
	v_fma_f32 v52, v3, s12, -v4
	v_rndne_f32_e32 v64, v4
	v_fmac_f32_e32 v52, 0x32a5705f, v3
	v_sub_f32_e32 v4, v4, v64
	v_add_f32_e32 v4, v4, v52
	v_exp_f32_e32 v4, v4
	v_cvt_i32_f32_e32 v52, v64
	v_cndmask_b32_e32 v2, 0, v2, vcc
	v_cmp_nlt_f32_e32 vcc, s14, v1
	v_cndmask_b32_e32 v2, v43, v2, vcc
	v_ldexp_f32 v4, v4, v52
	v_cmp_ngt_f32_e32 vcc, s13, v3
	v_cndmask_b32_e32 v4, 0, v4, vcc
	v_cmp_nlt_f32_e32 vcc, s14, v3
	v_cndmask_b32_e32 v3, v43, v4, vcc
	v_cvt_f16_f32_e32 v1, v2
	v_add_f32_e32 v4, v2, v3
	v_cvt_f16_f32_e32 v2, v3
	v_sub_f32_e32 v3, v66, v18
	v_mul_f32_e32 v52, 0x3fb8aa3b, v3
	v_fma_f32 v64, v3, s12, -v52
	v_rndne_f32_e32 v66, v52
	v_fmac_f32_e32 v64, 0x32a5705f, v3
	v_sub_f32_e32 v52, v52, v66
	v_add_f32_e32 v52, v52, v64
	v_exp_f32_e32 v52, v52
	v_cvt_i32_f32_e32 v64, v66
	v_cmp_ngt_f32_e32 vcc, s13, v3
	v_ldexp_f32 v52, v52, v64
	v_cndmask_b32_e32 v52, 0, v52, vcc
	v_cmp_nlt_f32_e32 vcc, s14, v3
	v_cndmask_b32_e32 v3, v43, v52, vcc
	v_sub_f32_e32 v52, v68, v18
	v_mul_f32_e32 v64, 0x3fb8aa3b, v52
	v_fma_f32 v66, v52, s12, -v64
	v_rndne_f32_e32 v68, v64
	v_fmac_f32_e32 v66, 0x32a5705f, v52
	v_sub_f32_e32 v64, v64, v68
	v_add_f32_e32 v64, v64, v66
	v_exp_f32_e32 v64, v64
	v_cvt_i32_f32_e32 v66, v68
	v_cmp_ngt_f32_e32 vcc, s13, v52
	v_add_f32_e32 v4, v3, v4
	v_cvt_f16_f32_e32 v3, v3
	v_ldexp_f32 v64, v64, v66
	v_cndmask_b32_e32 v64, 0, v64, vcc
	v_cmp_nlt_f32_e32 vcc, s14, v52
	v_cndmask_b32_e32 v64, v43, v64, vcc
	v_add_f32_e32 v52, v64, v4
	v_cvt_f16_f32_e32 v4, v64
	v_mul_f32_e32 v64, 0x3fb8aa3b, v63
	v_fma_f32 v66, v63, s12, -v64
	v_rndne_f32_e32 v68, v64
	v_fmac_f32_e32 v66, 0x32a5705f, v63
	v_sub_f32_e32 v64, v64, v68
	v_add_f32_e32 v64, v64, v66
	v_exp_f32_e32 v64, v64
	v_cvt_i32_f32_e32 v66, v68
	v_cmp_ngt_f32_e32 vcc, s13, v63
	v_sub_f32_e32 v68, v61, v19
	v_ldexp_f32 v64, v64, v66
	v_cndmask_b32_e32 v64, 0, v64, vcc
	v_cmp_nlt_f32_e32 vcc, s14, v63
	v_cndmask_b32_e32 v63, v43, v64, vcc
	v_fmac_f32_e32 v52, v62, v63
	v_cvt_f16_f32_e32 v62, v63
	v_mul_u32_u24_e32 v63, 0x10001, v62
	v_pk_mul_f16 v62, v60, v63
	v_pk_mul_f16 v60, v58, v63
	;; [unrolled: 1-line block ×5, first 2 shown]
	v_sub_f32_e32 v55, v72, v19
	v_mul_f32_e32 v61, 0x3fb8aa3b, v55
	v_fma_f32 v64, v55, s12, -v61
	v_rndne_f32_e32 v66, v61
	v_fmac_f32_e32 v64, 0x32a5705f, v55
	v_sub_f32_e32 v61, v61, v66
	v_add_f32_e32 v61, v61, v64
	v_exp_f32_e32 v61, v61
	v_cvt_i32_f32_e32 v64, v66
	v_cmp_ngt_f32_e32 vcc, s13, v55
	v_pk_mul_f16 v59, v59, v63
	v_pk_mul_f16 v57, v57, v63
	v_ldexp_f32 v61, v61, v64
	v_sub_f32_e32 v64, v74, v19
	v_mul_f32_e32 v66, 0x3fb8aa3b, v64
	v_fma_f32 v69, v64, s12, -v66
	v_rndne_f32_e32 v70, v66
	v_fmac_f32_e32 v69, 0x32a5705f, v64
	v_sub_f32_e32 v66, v66, v70
	v_add_f32_e32 v66, v66, v69
	v_exp_f32_e32 v66, v66
	v_cvt_i32_f32_e32 v69, v70
	v_cndmask_b32_e32 v61, 0, v61, vcc
	v_cmp_nlt_f32_e32 vcc, s14, v55
	v_cndmask_b32_e32 v61, v43, v61, vcc
	v_ldexp_f32 v66, v66, v69
	v_cmp_ngt_f32_e32 vcc, s13, v64
	v_cndmask_b32_e32 v66, 0, v66, vcc
	v_cmp_nlt_f32_e32 vcc, s14, v64
	v_cndmask_b32_e32 v64, v43, v66, vcc
	v_cvt_f16_f32_e32 v55, v61
	v_add_f32_e32 v66, v61, v64
	v_cvt_f16_f32_e32 v61, v64
	v_sub_f32_e32 v64, v65, v19
	v_mul_f32_e32 v65, 0x3fb8aa3b, v64
	v_fma_f32 v69, v64, s12, -v65
	v_rndne_f32_e32 v70, v65
	v_fmac_f32_e32 v69, 0x32a5705f, v64
	v_sub_f32_e32 v65, v65, v70
	v_add_f32_e32 v65, v65, v69
	v_exp_f32_e32 v65, v65
	v_cvt_i32_f32_e32 v69, v70
	v_cmp_ngt_f32_e32 vcc, s13, v64
	v_pack_b32_f16 v1, v1, v55
	v_pack_b32_f16 v2, v2, v61
	v_ldexp_f32 v65, v65, v69
	v_cndmask_b32_e32 v65, 0, v65, vcc
	v_cmp_nlt_f32_e32 vcc, s14, v64
	v_cndmask_b32_e32 v64, v43, v65, vcc
	v_add_f32_e32 v65, v64, v66
	v_sub_f32_e32 v66, v67, v19
	v_mul_f32_e32 v67, 0x3fb8aa3b, v66
	v_fma_f32 v69, v66, s12, -v67
	v_rndne_f32_e32 v70, v67
	v_fmac_f32_e32 v69, 0x32a5705f, v66
	v_sub_f32_e32 v67, v67, v70
	v_add_f32_e32 v67, v67, v69
	v_exp_f32_e32 v67, v67
	v_cvt_i32_f32_e32 v69, v70
	v_cmp_ngt_f32_e32 vcc, s13, v66
	v_cvt_f16_f32_e32 v64, v64
	ds_write2_b32 v44, v1, v2 offset1:32
	v_ldexp_f32 v67, v67, v69
	v_cndmask_b32_e32 v67, 0, v67, vcc
	v_cmp_nlt_f32_e32 vcc, s14, v66
	v_cndmask_b32_e32 v67, v43, v67, vcc
	v_add_f32_e32 v66, v67, v65
	v_cvt_f16_f32_e32 v65, v67
	v_mul_f32_e32 v67, 0x3fb8aa3b, v68
	v_fma_f32 v69, v68, s12, -v67
	v_rndne_f32_e32 v70, v67
	v_fmac_f32_e32 v69, 0x32a5705f, v68
	v_sub_f32_e32 v67, v67, v70
	v_add_f32_e32 v67, v67, v69
	v_exp_f32_e32 v67, v67
	v_cvt_i32_f32_e32 v69, v70
	v_cmp_ngt_f32_e32 vcc, s13, v68
	v_pack_b32_f16 v1, v3, v64
	v_pack_b32_f16 v2, v4, v65
	v_ldexp_f32 v67, v67, v69
	v_cndmask_b32_e32 v67, 0, v67, vcc
	v_cmp_nlt_f32_e32 vcc, s14, v68
	v_cndmask_b32_e32 v67, v43, v67, vcc
	v_mov_b32_e32 v68, v31
	v_mov_b32_e32 v31, v66
	v_cvt_f16_f32_e32 v66, v67
	ds_write2_b32 v44, v1, v2 offset0:64 offset1:96
	v_mov_b32_e32 v1, s19
	v_fmac_f32_e32 v31, v68, v67
	v_mul_u32_u24_e32 v80, 0x10001, v66
	v_pk_mul_f16 v84, v7, v80
	v_add_co_u32_e32 v7, vcc, s18, v39
	v_pk_mul_f16 v82, v8, v80
	v_addc_co_u32_e32 v8, vcc, v40, v1, vcc
	global_load_dwordx4 v[1:4], v[7:8], off
	v_pk_mul_f16 v81, v10, v80
	v_pk_mul_f16 v83, v9, v80
	;; [unrolled: 1-line block ×5, first 2 shown]
	s_or_b32 s18, s6, 16
	s_mul_hi_i32 s19, s18, s8
	s_mul_i32 s18, s18, s8
	s_lshl_b64 s[18:19], s[18:19], 2
	s_waitcnt vmcnt(0)
	ds_write_b128 v36, v[1:4]
	global_load_dwordx4 v[1:4], v[7:8], off offset:512
	s_waitcnt vmcnt(0)
	ds_write_b128 v37, v[1:4]
	s_waitcnt lgkmcnt(0)
	s_barrier
	ds_read2_b64 v[7:10], v38 offset1:32
	ds_read2_b64 v[64:67], v38 offset0:64 offset1:96
	ds_read_b128 v[68:71], v35
	ds_read_b128 v[72:75], v35 offset:16
	ds_read_b128 v[76:79], v35 offset:32
	;; [unrolled: 1-line block ×3, first 2 shown]
	s_waitcnt lgkmcnt(3)
	v_mul_u32_u24_sdwa v55, v68, s15 dst_sel:DWORD dst_unused:UNUSED_PAD src0_sel:WORD_0 src1_sel:DWORD
	v_mul_u32_u24_sdwa v61, v68, s15 dst_sel:DWORD dst_unused:UNUSED_PAD src0_sel:WORD_1 src1_sel:DWORD
	v_pk_mul_f16 v68, v7, v55
	v_pk_mul_f16 v7, v7, v61
	v_pk_fma_f16 v53, v53, v63, v68
	v_pk_fma_f16 v63, v6, v80, v7
	;; [unrolled: 1-line block ×13, first 2 shown]
	ds_read2_b64 v[5:8], v38 offset0:128 offset1:160
	ds_read2_b64 v[9:12], v38 offset0:192 offset1:224
	v_pk_fma_f16 v64, v64, v61, v82
	v_pk_fma_f16 v65, v65, v61, v83
	;; [unrolled: 1-line block ×3, first 2 shown]
	v_mul_u32_u24_sdwa v61, v69, s15 dst_sel:DWORD dst_unused:UNUSED_PAD src0_sel:WORD_0 src1_sel:DWORD
	v_mul_u32_u24_sdwa v67, v69, s15 dst_sel:DWORD dst_unused:UNUSED_PAD src0_sel:WORD_1 src1_sel:DWORD
	s_waitcnt lgkmcnt(1)
	v_pk_fma_f16 v53, v5, v61, v53
	v_pk_fma_f16 v63, v5, v67, v63
	v_pk_fma_f16 v62, v6, v61, v62
	v_pk_fma_f16 v68, v6, v67, v68
	v_pk_fma_f16 v60, v7, v61, v60
	v_pk_fma_f16 v69, v7, v67, v80
	v_pk_fma_f16 v59, v8, v61, v59
	v_pk_fma_f16 v80, v8, v67, v81
	s_waitcnt lgkmcnt(0)
	v_pk_fma_f16 v58, v9, v61, v58
	v_pk_fma_f16 v64, v9, v67, v64
	v_pk_fma_f16 v57, v10, v61, v57
	v_pk_fma_f16 v65, v10, v67, v65
	v_pk_fma_f16 v56, v11, v61, v56
	v_pk_fma_f16 v66, v11, v67, v66
	v_pk_fma_f16 v54, v12, v61, v54
	v_pk_fma_f16 v55, v12, v67, v55
	ds_read2_b64 v[5:8], v45 offset1:32
	ds_read2_b64 v[9:12], v45 offset0:64 offset1:96
	v_mul_u32_u24_sdwa v61, v70, s15 dst_sel:DWORD dst_unused:UNUSED_PAD src0_sel:WORD_0 src1_sel:DWORD
	v_mul_u32_u24_sdwa v67, v70, s15 dst_sel:DWORD dst_unused:UNUSED_PAD src0_sel:WORD_1 src1_sel:DWORD
	s_waitcnt lgkmcnt(1)
	v_pk_fma_f16 v53, v5, v61, v53
	v_pk_fma_f16 v63, v5, v67, v63
	v_pk_fma_f16 v62, v6, v61, v62
	v_pk_fma_f16 v68, v6, v67, v68
	v_pk_fma_f16 v60, v7, v61, v60
	v_pk_fma_f16 v69, v7, v67, v69
	v_pk_fma_f16 v59, v8, v61, v59
	v_pk_fma_f16 v70, v8, v67, v80
	s_waitcnt lgkmcnt(0)
	v_pk_fma_f16 v58, v9, v61, v58
	v_pk_fma_f16 v64, v9, v67, v64
	v_pk_fma_f16 v57, v10, v61, v57
	v_pk_fma_f16 v65, v10, v67, v65
	v_pk_fma_f16 v56, v11, v61, v56
	v_pk_fma_f16 v66, v11, v67, v66
	v_pk_fma_f16 v54, v12, v61, v54
	v_pk_fma_f16 v55, v12, v67, v55
	ds_read2_b64 v[5:8], v45 offset0:128 offset1:160
	ds_read2_b64 v[9:12], v45 offset0:192 offset1:224
	v_mul_u32_u24_sdwa v61, v71, s15 dst_sel:DWORD dst_unused:UNUSED_PAD src0_sel:WORD_0 src1_sel:DWORD
	v_mul_u32_u24_sdwa v67, v71, s15 dst_sel:DWORD dst_unused:UNUSED_PAD src0_sel:WORD_1 src1_sel:DWORD
	s_waitcnt lgkmcnt(1)
	v_pk_fma_f16 v53, v5, v61, v53
	v_pk_fma_f16 v63, v5, v67, v63
	v_pk_fma_f16 v62, v6, v61, v62
	v_pk_fma_f16 v68, v6, v67, v68
	v_pk_fma_f16 v60, v7, v61, v60
	v_pk_fma_f16 v69, v7, v67, v69
	v_pk_fma_f16 v59, v8, v61, v59
	v_pk_fma_f16 v70, v8, v67, v70
	s_waitcnt lgkmcnt(0)
	v_pk_fma_f16 v58, v9, v61, v58
	v_pk_fma_f16 v64, v9, v67, v64
	v_pk_fma_f16 v57, v10, v61, v57
	v_pk_fma_f16 v65, v10, v67, v65
	v_pk_fma_f16 v56, v11, v61, v56
	v_pk_fma_f16 v66, v11, v67, v66
	v_pk_fma_f16 v54, v12, v61, v54
	v_pk_fma_f16 v55, v12, v67, v55
	ds_read2_b64 v[5:8], v46 offset1:32
	ds_read2_b64 v[9:12], v46 offset0:64 offset1:96
	v_mul_u32_u24_sdwa v61, v72, s15 dst_sel:DWORD dst_unused:UNUSED_PAD src0_sel:WORD_0 src1_sel:DWORD
	v_mul_u32_u24_sdwa v67, v72, s15 dst_sel:DWORD dst_unused:UNUSED_PAD src0_sel:WORD_1 src1_sel:DWORD
	s_waitcnt lgkmcnt(1)
	v_pk_fma_f16 v53, v5, v61, v53
	v_pk_fma_f16 v63, v5, v67, v63
	v_pk_fma_f16 v62, v6, v61, v62
	v_pk_fma_f16 v68, v6, v67, v68
	v_pk_fma_f16 v60, v7, v61, v60
	v_pk_fma_f16 v69, v7, v67, v69
	v_pk_fma_f16 v59, v8, v61, v59
	v_pk_fma_f16 v70, v8, v67, v70
	s_waitcnt lgkmcnt(0)
	v_pk_fma_f16 v58, v9, v61, v58
	v_pk_fma_f16 v64, v9, v67, v64
	v_pk_fma_f16 v57, v10, v61, v57
	v_pk_fma_f16 v65, v10, v67, v65
	v_pk_fma_f16 v56, v11, v61, v56
	v_pk_fma_f16 v66, v11, v67, v66
	v_pk_fma_f16 v54, v12, v61, v54
	v_pk_fma_f16 v55, v12, v67, v55
	ds_read2_b64 v[5:8], v46 offset0:128 offset1:160
	ds_read2_b64 v[9:12], v46 offset0:192 offset1:224
	;; [unrolled: 44-line block ×6, first 2 shown]
	v_mul_u32_u24_sdwa v55, v2, s15 dst_sel:DWORD dst_unused:UNUSED_PAD src0_sel:WORD_0 src1_sel:DWORD
	v_mul_u32_u24_sdwa v2, v2, s15 dst_sel:DWORD dst_unused:UNUSED_PAD src0_sel:WORD_1 src1_sel:DWORD
	s_waitcnt lgkmcnt(1)
	v_pk_fma_f16 v53, v5, v55, v53
	v_pk_fma_f16 v61, v5, v2, v63
	v_pk_fma_f16 v62, v6, v55, v62
	v_pk_fma_f16 v63, v6, v2, v67
	v_pk_fma_f16 v60, v7, v55, v60
	v_pk_fma_f16 v67, v7, v2, v68
	v_pk_fma_f16 v59, v8, v55, v59
	v_pk_fma_f16 v68, v8, v2, v69
	s_waitcnt lgkmcnt(0)
	v_pk_fma_f16 v58, v9, v55, v58
	v_pk_fma_f16 v64, v9, v2, v64
	;; [unrolled: 1-line block ×8, first 2 shown]
	ds_read2_b64 v[5:8], v51 offset1:32
	ds_read2_b64 v[9:12], v51 offset0:64 offset1:96
	v_mul_u32_u24_sdwa v2, v3, s15 dst_sel:DWORD dst_unused:UNUSED_PAD src0_sel:WORD_0 src1_sel:DWORD
	v_mul_u32_u24_sdwa v3, v3, s15 dst_sel:DWORD dst_unused:UNUSED_PAD src0_sel:WORD_1 src1_sel:DWORD
	s_waitcnt lgkmcnt(1)
	v_pk_fma_f16 v53, v5, v2, v53
	v_pk_fma_f16 v55, v5, v3, v61
	;; [unrolled: 1-line block ×6, first 2 shown]
	s_waitcnt lgkmcnt(0)
	v_pk_fma_f16 v70, v9, v2, v58
	v_pk_fma_f16 v64, v9, v3, v64
	v_pk_fma_f16 v71, v10, v2, v57
	v_pk_fma_f16 v65, v10, v3, v65
	v_pk_fma_f16 v72, v11, v2, v56
	v_pk_fma_f16 v66, v11, v3, v66
	v_pk_fma_f16 v2, v12, v2, v54
	v_pk_fma_f16 v1, v12, v3, v1
	ds_read2_b64 v[9:12], v51 offset0:128 offset1:160
	ds_read2_b64 v[57:60], v51 offset0:192 offset1:224
	v_pk_fma_f16 v67, v7, v3, v67
	v_pk_fma_f16 v68, v8, v3, v68
	v_mul_u32_u24_sdwa v3, v4, s15 dst_sel:DWORD dst_unused:UNUSED_PAD src0_sel:WORD_0 src1_sel:DWORD
	v_mul_u32_u24_sdwa v4, v4, s15 dst_sel:DWORD dst_unused:UNUSED_PAD src0_sel:WORD_1 src1_sel:DWORD
	s_waitcnt lgkmcnt(1)
	v_pk_fma_f16 v5, v9, v3, v53
	v_pk_fma_f16 v6, v9, v4, v55
	v_pk_fma_f16 v7, v10, v3, v61
	s_waitcnt lgkmcnt(0)
	v_pk_fma_f16 v53, v57, v3, v70
	v_pk_fma_f16 v54, v57, v4, v64
	;; [unrolled: 1-line block ×8, first 2 shown]
	v_add_co_u32_e32 v61, vcc, s18, v39
	v_mov_b32_e32 v1, s19
	v_pk_fma_f16 v8, v10, v4, v62
	v_addc_co_u32_e32 v62, vcc, v40, v1, vcc
	v_pk_fma_f16 v9, v11, v3, v63
	v_pk_fma_f16 v10, v11, v4, v67
	v_pk_fma_f16 v11, v12, v3, v69
	v_pk_fma_f16 v12, v12, v4, v68
	s_barrier
	global_load_dwordx4 v[1:4], v[61:62], off
	s_or_b32 s18, s6, 32
	s_mul_hi_i32 s19, s18, s8
	s_mul_i32 s18, s18, s8
	s_lshl_b64 s[18:19], s[18:19], 2
	s_waitcnt vmcnt(0)
	ds_write_b128 v36, v[1:4]
	global_load_dwordx4 v[1:4], v[61:62], off offset:512
	s_waitcnt vmcnt(0)
	ds_write_b128 v37, v[1:4]
	s_waitcnt lgkmcnt(0)
	s_barrier
	ds_read2_b64 v[61:64], v38 offset1:32
	ds_read2_b64 v[65:68], v38 offset0:64 offset1:96
	ds_read_b128 v[69:72], v35 offset:64
	ds_read_b128 v[73:76], v35 offset:80
	;; [unrolled: 1-line block ×4, first 2 shown]
	s_waitcnt lgkmcnt(3)
	v_mul_u32_u24_sdwa v81, v69, s15 dst_sel:DWORD dst_unused:UNUSED_PAD src0_sel:WORD_0 src1_sel:DWORD
	v_mul_u32_u24_sdwa v69, v69, s15 dst_sel:DWORD dst_unused:UNUSED_PAD src0_sel:WORD_1 src1_sel:DWORD
	v_pk_fma_f16 v82, v61, v81, v5
	v_pk_fma_f16 v61, v61, v69, v6
	;; [unrolled: 1-line block ×8, first 2 shown]
	ds_read2_b64 v[5:8], v38 offset0:128 offset1:160
	ds_read2_b64 v[9:12], v38 offset0:192 offset1:224
	v_pk_fma_f16 v53, v65, v81, v53
	v_pk_fma_f16 v54, v65, v69, v54
	;; [unrolled: 1-line block ×8, first 2 shown]
	v_mul_u32_u24_sdwa v65, v70, s15 dst_sel:DWORD dst_unused:UNUSED_PAD src0_sel:WORD_0 src1_sel:DWORD
	v_mul_u32_u24_sdwa v66, v70, s15 dst_sel:DWORD dst_unused:UNUSED_PAD src0_sel:WORD_1 src1_sel:DWORD
	s_waitcnt lgkmcnt(1)
	v_pk_fma_f16 v67, v5, v65, v82
	v_pk_fma_f16 v61, v5, v66, v61
	v_pk_fma_f16 v68, v6, v65, v83
	v_pk_fma_f16 v62, v6, v66, v62
	v_pk_fma_f16 v69, v7, v65, v84
	v_pk_fma_f16 v63, v7, v66, v63
	v_pk_fma_f16 v70, v8, v65, v85
	v_pk_fma_f16 v64, v8, v66, v64
	s_waitcnt lgkmcnt(0)
	v_pk_fma_f16 v53, v9, v65, v53
	v_pk_fma_f16 v54, v9, v66, v54
	v_pk_fma_f16 v55, v10, v65, v55
	v_pk_fma_f16 v56, v10, v66, v56
	v_pk_fma_f16 v57, v11, v65, v57
	v_pk_fma_f16 v58, v11, v66, v58
	v_pk_fma_f16 v59, v12, v65, v59
	v_pk_fma_f16 v60, v12, v66, v60
	ds_read2_b64 v[5:8], v45 offset1:32
	ds_read2_b64 v[9:12], v45 offset0:64 offset1:96
	v_mul_u32_u24_sdwa v65, v71, s15 dst_sel:DWORD dst_unused:UNUSED_PAD src0_sel:WORD_0 src1_sel:DWORD
	v_mul_u32_u24_sdwa v66, v71, s15 dst_sel:DWORD dst_unused:UNUSED_PAD src0_sel:WORD_1 src1_sel:DWORD
	s_waitcnt lgkmcnt(1)
	v_pk_fma_f16 v67, v5, v65, v67
	v_pk_fma_f16 v61, v5, v66, v61
	v_pk_fma_f16 v68, v6, v65, v68
	v_pk_fma_f16 v62, v6, v66, v62
	v_pk_fma_f16 v69, v7, v65, v69
	v_pk_fma_f16 v63, v7, v66, v63
	v_pk_fma_f16 v70, v8, v65, v70
	v_pk_fma_f16 v64, v8, v66, v64
	s_waitcnt lgkmcnt(0)
	v_pk_fma_f16 v53, v9, v65, v53
	v_pk_fma_f16 v54, v9, v66, v54
	v_pk_fma_f16 v55, v10, v65, v55
	v_pk_fma_f16 v56, v10, v66, v56
	v_pk_fma_f16 v57, v11, v65, v57
	v_pk_fma_f16 v58, v11, v66, v58
	v_pk_fma_f16 v59, v12, v65, v59
	v_pk_fma_f16 v60, v12, v66, v60
	ds_read2_b64 v[5:8], v45 offset0:128 offset1:160
	ds_read2_b64 v[9:12], v45 offset0:192 offset1:224
	v_mul_u32_u24_sdwa v65, v72, s15 dst_sel:DWORD dst_unused:UNUSED_PAD src0_sel:WORD_0 src1_sel:DWORD
	v_mul_u32_u24_sdwa v66, v72, s15 dst_sel:DWORD dst_unused:UNUSED_PAD src0_sel:WORD_1 src1_sel:DWORD
	s_waitcnt lgkmcnt(1)
	v_pk_fma_f16 v67, v5, v65, v67
	v_pk_fma_f16 v61, v5, v66, v61
	v_pk_fma_f16 v68, v6, v65, v68
	v_pk_fma_f16 v62, v6, v66, v62
	v_pk_fma_f16 v69, v7, v65, v69
	v_pk_fma_f16 v63, v7, v66, v63
	v_pk_fma_f16 v70, v8, v65, v70
	v_pk_fma_f16 v64, v8, v66, v64
	s_waitcnt lgkmcnt(0)
	v_pk_fma_f16 v53, v9, v65, v53
	v_pk_fma_f16 v54, v9, v66, v54
	v_pk_fma_f16 v55, v10, v65, v55
	v_pk_fma_f16 v56, v10, v66, v56
	v_pk_fma_f16 v57, v11, v65, v57
	v_pk_fma_f16 v58, v11, v66, v58
	v_pk_fma_f16 v59, v12, v65, v59
	v_pk_fma_f16 v60, v12, v66, v60
	ds_read2_b64 v[5:8], v46 offset1:32
	ds_read2_b64 v[9:12], v46 offset0:64 offset1:96
	v_mul_u32_u24_sdwa v65, v73, s15 dst_sel:DWORD dst_unused:UNUSED_PAD src0_sel:WORD_0 src1_sel:DWORD
	v_mul_u32_u24_sdwa v66, v73, s15 dst_sel:DWORD dst_unused:UNUSED_PAD src0_sel:WORD_1 src1_sel:DWORD
	s_waitcnt lgkmcnt(1)
	v_pk_fma_f16 v67, v5, v65, v67
	v_pk_fma_f16 v61, v5, v66, v61
	v_pk_fma_f16 v68, v6, v65, v68
	v_pk_fma_f16 v62, v6, v66, v62
	v_pk_fma_f16 v69, v7, v65, v69
	v_pk_fma_f16 v63, v7, v66, v63
	v_pk_fma_f16 v70, v8, v65, v70
	v_pk_fma_f16 v64, v8, v66, v64
	s_waitcnt lgkmcnt(0)
	v_pk_fma_f16 v53, v9, v65, v53
	v_pk_fma_f16 v54, v9, v66, v54
	v_pk_fma_f16 v55, v10, v65, v55
	v_pk_fma_f16 v56, v10, v66, v56
	v_pk_fma_f16 v57, v11, v65, v57
	v_pk_fma_f16 v58, v11, v66, v58
	v_pk_fma_f16 v59, v12, v65, v59
	v_pk_fma_f16 v60, v12, v66, v60
	ds_read2_b64 v[5:8], v46 offset0:128 offset1:160
	ds_read2_b64 v[9:12], v46 offset0:192 offset1:224
	;; [unrolled: 44-line block ×6, first 2 shown]
	v_mul_u32_u24_sdwa v60, v2, s15 dst_sel:DWORD dst_unused:UNUSED_PAD src0_sel:WORD_0 src1_sel:DWORD
	v_mul_u32_u24_sdwa v2, v2, s15 dst_sel:DWORD dst_unused:UNUSED_PAD src0_sel:WORD_1 src1_sel:DWORD
	s_waitcnt lgkmcnt(1)
	v_pk_fma_f16 v65, v5, v60, v66
	v_pk_fma_f16 v61, v5, v2, v61
	v_pk_fma_f16 v66, v6, v60, v67
	v_pk_fma_f16 v62, v6, v2, v62
	v_pk_fma_f16 v67, v7, v60, v68
	v_pk_fma_f16 v63, v7, v2, v63
	v_pk_fma_f16 v68, v8, v60, v69
	v_pk_fma_f16 v64, v8, v2, v64
	s_waitcnt lgkmcnt(0)
	v_pk_fma_f16 v53, v9, v60, v53
	v_pk_fma_f16 v54, v9, v2, v54
	;; [unrolled: 1-line block ×8, first 2 shown]
	ds_read2_b64 v[5:8], v51 offset1:32
	ds_read2_b64 v[9:12], v51 offset0:64 offset1:96
	v_mul_u32_u24_sdwa v2, v3, s15 dst_sel:DWORD dst_unused:UNUSED_PAD src0_sel:WORD_0 src1_sel:DWORD
	v_mul_u32_u24_sdwa v3, v3, s15 dst_sel:DWORD dst_unused:UNUSED_PAD src0_sel:WORD_1 src1_sel:DWORD
	s_waitcnt lgkmcnt(1)
	v_pk_fma_f16 v65, v5, v2, v65
	v_pk_fma_f16 v66, v6, v2, v66
	;; [unrolled: 1-line block ×4, first 2 shown]
	s_waitcnt lgkmcnt(0)
	v_pk_fma_f16 v53, v9, v2, v53
	v_pk_fma_f16 v54, v9, v3, v54
	;; [unrolled: 1-line block ×8, first 2 shown]
	ds_read2_b64 v[9:12], v51 offset0:128 offset1:160
	ds_read2_b64 v[57:60], v51 offset0:192 offset1:224
	v_pk_fma_f16 v61, v5, v3, v61
	v_pk_fma_f16 v62, v6, v3, v62
	;; [unrolled: 1-line block ×4, first 2 shown]
	v_mul_u32_u24_sdwa v3, v4, s15 dst_sel:DWORD dst_unused:UNUSED_PAD src0_sel:WORD_0 src1_sel:DWORD
	v_mul_u32_u24_sdwa v4, v4, s15 dst_sel:DWORD dst_unused:UNUSED_PAD src0_sel:WORD_1 src1_sel:DWORD
	s_waitcnt lgkmcnt(1)
	v_pk_fma_f16 v6, v9, v4, v61
	s_waitcnt lgkmcnt(0)
	v_pk_fma_f16 v53, v57, v3, v53
	v_pk_fma_f16 v54, v57, v4, v54
	;; [unrolled: 1-line block ×8, first 2 shown]
	v_add_co_u32_e32 v61, vcc, s18, v39
	v_mov_b32_e32 v1, s19
	v_pk_fma_f16 v8, v10, v4, v62
	v_addc_co_u32_e32 v62, vcc, v40, v1, vcc
	v_pk_fma_f16 v5, v9, v3, v65
	v_pk_fma_f16 v7, v10, v3, v66
	v_pk_fma_f16 v9, v11, v3, v67
	v_pk_fma_f16 v10, v11, v4, v63
	v_pk_fma_f16 v11, v12, v3, v68
	v_pk_fma_f16 v12, v12, v4, v64
	s_barrier
	global_load_dwordx4 v[1:4], v[61:62], off
	s_or_b32 s18, s6, 48
	s_mul_hi_i32 s19, s18, s8
	s_mul_i32 s18, s18, s8
	s_lshl_b64 s[18:19], s[18:19], 2
	s_waitcnt vmcnt(0)
	ds_write_b128 v36, v[1:4]
	global_load_dwordx4 v[1:4], v[61:62], off offset:512
	s_waitcnt vmcnt(0)
	ds_write_b128 v37, v[1:4]
	s_waitcnt lgkmcnt(0)
	s_barrier
	ds_read2_b64 v[61:64], v38 offset1:32
	ds_read2_b64 v[65:68], v38 offset0:64 offset1:96
	ds_read_b128 v[69:72], v35 offset:128
	ds_read_b128 v[73:76], v35 offset:144
	;; [unrolled: 1-line block ×4, first 2 shown]
	s_waitcnt lgkmcnt(3)
	v_mul_u32_u24_sdwa v81, v69, s15 dst_sel:DWORD dst_unused:UNUSED_PAD src0_sel:WORD_0 src1_sel:DWORD
	v_mul_u32_u24_sdwa v69, v69, s15 dst_sel:DWORD dst_unused:UNUSED_PAD src0_sel:WORD_1 src1_sel:DWORD
	v_pk_fma_f16 v82, v61, v81, v5
	v_pk_fma_f16 v61, v61, v69, v6
	;; [unrolled: 1-line block ×8, first 2 shown]
	ds_read2_b64 v[5:8], v38 offset0:128 offset1:160
	ds_read2_b64 v[9:12], v38 offset0:192 offset1:224
	v_pk_fma_f16 v53, v65, v81, v53
	v_pk_fma_f16 v54, v65, v69, v54
	;; [unrolled: 1-line block ×8, first 2 shown]
	v_mul_u32_u24_sdwa v65, v70, s15 dst_sel:DWORD dst_unused:UNUSED_PAD src0_sel:WORD_0 src1_sel:DWORD
	v_mul_u32_u24_sdwa v66, v70, s15 dst_sel:DWORD dst_unused:UNUSED_PAD src0_sel:WORD_1 src1_sel:DWORD
	s_waitcnt lgkmcnt(1)
	v_pk_fma_f16 v67, v5, v65, v82
	v_pk_fma_f16 v61, v5, v66, v61
	v_pk_fma_f16 v68, v6, v65, v83
	v_pk_fma_f16 v62, v6, v66, v62
	v_pk_fma_f16 v69, v7, v65, v84
	v_pk_fma_f16 v63, v7, v66, v63
	v_pk_fma_f16 v70, v8, v65, v85
	v_pk_fma_f16 v64, v8, v66, v64
	s_waitcnt lgkmcnt(0)
	v_pk_fma_f16 v53, v9, v65, v53
	v_pk_fma_f16 v54, v9, v66, v54
	v_pk_fma_f16 v55, v10, v65, v55
	v_pk_fma_f16 v56, v10, v66, v56
	v_pk_fma_f16 v57, v11, v65, v57
	v_pk_fma_f16 v58, v11, v66, v58
	v_pk_fma_f16 v59, v12, v65, v59
	v_pk_fma_f16 v60, v12, v66, v60
	ds_read2_b64 v[5:8], v45 offset1:32
	ds_read2_b64 v[9:12], v45 offset0:64 offset1:96
	v_mul_u32_u24_sdwa v65, v71, s15 dst_sel:DWORD dst_unused:UNUSED_PAD src0_sel:WORD_0 src1_sel:DWORD
	v_mul_u32_u24_sdwa v66, v71, s15 dst_sel:DWORD dst_unused:UNUSED_PAD src0_sel:WORD_1 src1_sel:DWORD
	s_waitcnt lgkmcnt(1)
	v_pk_fma_f16 v67, v5, v65, v67
	v_pk_fma_f16 v61, v5, v66, v61
	v_pk_fma_f16 v68, v6, v65, v68
	v_pk_fma_f16 v62, v6, v66, v62
	v_pk_fma_f16 v69, v7, v65, v69
	v_pk_fma_f16 v63, v7, v66, v63
	v_pk_fma_f16 v70, v8, v65, v70
	v_pk_fma_f16 v64, v8, v66, v64
	s_waitcnt lgkmcnt(0)
	v_pk_fma_f16 v53, v9, v65, v53
	v_pk_fma_f16 v54, v9, v66, v54
	v_pk_fma_f16 v55, v10, v65, v55
	v_pk_fma_f16 v56, v10, v66, v56
	v_pk_fma_f16 v57, v11, v65, v57
	v_pk_fma_f16 v58, v11, v66, v58
	v_pk_fma_f16 v59, v12, v65, v59
	v_pk_fma_f16 v60, v12, v66, v60
	ds_read2_b64 v[5:8], v45 offset0:128 offset1:160
	ds_read2_b64 v[9:12], v45 offset0:192 offset1:224
	v_mul_u32_u24_sdwa v65, v72, s15 dst_sel:DWORD dst_unused:UNUSED_PAD src0_sel:WORD_0 src1_sel:DWORD
	v_mul_u32_u24_sdwa v66, v72, s15 dst_sel:DWORD dst_unused:UNUSED_PAD src0_sel:WORD_1 src1_sel:DWORD
	s_waitcnt lgkmcnt(1)
	v_pk_fma_f16 v67, v5, v65, v67
	v_pk_fma_f16 v61, v5, v66, v61
	v_pk_fma_f16 v68, v6, v65, v68
	v_pk_fma_f16 v62, v6, v66, v62
	v_pk_fma_f16 v69, v7, v65, v69
	v_pk_fma_f16 v63, v7, v66, v63
	v_pk_fma_f16 v70, v8, v65, v70
	v_pk_fma_f16 v64, v8, v66, v64
	s_waitcnt lgkmcnt(0)
	v_pk_fma_f16 v53, v9, v65, v53
	v_pk_fma_f16 v54, v9, v66, v54
	v_pk_fma_f16 v55, v10, v65, v55
	v_pk_fma_f16 v56, v10, v66, v56
	v_pk_fma_f16 v57, v11, v65, v57
	v_pk_fma_f16 v58, v11, v66, v58
	v_pk_fma_f16 v59, v12, v65, v59
	v_pk_fma_f16 v60, v12, v66, v60
	ds_read2_b64 v[5:8], v46 offset1:32
	ds_read2_b64 v[9:12], v46 offset0:64 offset1:96
	v_mul_u32_u24_sdwa v65, v73, s15 dst_sel:DWORD dst_unused:UNUSED_PAD src0_sel:WORD_0 src1_sel:DWORD
	v_mul_u32_u24_sdwa v66, v73, s15 dst_sel:DWORD dst_unused:UNUSED_PAD src0_sel:WORD_1 src1_sel:DWORD
	s_waitcnt lgkmcnt(1)
	v_pk_fma_f16 v67, v5, v65, v67
	v_pk_fma_f16 v61, v5, v66, v61
	v_pk_fma_f16 v68, v6, v65, v68
	v_pk_fma_f16 v62, v6, v66, v62
	v_pk_fma_f16 v69, v7, v65, v69
	v_pk_fma_f16 v63, v7, v66, v63
	v_pk_fma_f16 v70, v8, v65, v70
	v_pk_fma_f16 v64, v8, v66, v64
	s_waitcnt lgkmcnt(0)
	v_pk_fma_f16 v53, v9, v65, v53
	v_pk_fma_f16 v54, v9, v66, v54
	v_pk_fma_f16 v55, v10, v65, v55
	v_pk_fma_f16 v56, v10, v66, v56
	v_pk_fma_f16 v57, v11, v65, v57
	v_pk_fma_f16 v58, v11, v66, v58
	v_pk_fma_f16 v59, v12, v65, v59
	v_pk_fma_f16 v60, v12, v66, v60
	ds_read2_b64 v[5:8], v46 offset0:128 offset1:160
	ds_read2_b64 v[9:12], v46 offset0:192 offset1:224
	;; [unrolled: 44-line block ×6, first 2 shown]
	v_mul_u32_u24_sdwa v60, v2, s15 dst_sel:DWORD dst_unused:UNUSED_PAD src0_sel:WORD_0 src1_sel:DWORD
	v_mul_u32_u24_sdwa v2, v2, s15 dst_sel:DWORD dst_unused:UNUSED_PAD src0_sel:WORD_1 src1_sel:DWORD
	s_waitcnt lgkmcnt(1)
	v_pk_fma_f16 v65, v5, v60, v66
	v_pk_fma_f16 v61, v5, v2, v61
	v_pk_fma_f16 v66, v6, v60, v67
	v_pk_fma_f16 v62, v6, v2, v62
	v_pk_fma_f16 v67, v7, v60, v68
	v_pk_fma_f16 v63, v7, v2, v63
	v_pk_fma_f16 v68, v8, v60, v69
	v_pk_fma_f16 v64, v8, v2, v64
	s_waitcnt lgkmcnt(0)
	v_pk_fma_f16 v53, v9, v60, v53
	v_pk_fma_f16 v54, v9, v2, v54
	;; [unrolled: 1-line block ×8, first 2 shown]
	ds_read2_b64 v[5:8], v51 offset1:32
	ds_read2_b64 v[9:12], v51 offset0:64 offset1:96
	v_mul_u32_u24_sdwa v2, v3, s15 dst_sel:DWORD dst_unused:UNUSED_PAD src0_sel:WORD_0 src1_sel:DWORD
	v_mul_u32_u24_sdwa v3, v3, s15 dst_sel:DWORD dst_unused:UNUSED_PAD src0_sel:WORD_1 src1_sel:DWORD
	s_waitcnt lgkmcnt(1)
	v_pk_fma_f16 v65, v5, v2, v65
	v_pk_fma_f16 v66, v6, v2, v66
	;; [unrolled: 1-line block ×4, first 2 shown]
	s_waitcnt lgkmcnt(0)
	v_pk_fma_f16 v53, v9, v2, v53
	v_pk_fma_f16 v54, v9, v3, v54
	;; [unrolled: 1-line block ×8, first 2 shown]
	ds_read2_b64 v[9:12], v51 offset0:128 offset1:160
	ds_read2_b64 v[57:60], v51 offset0:192 offset1:224
	v_pk_fma_f16 v61, v5, v3, v61
	v_pk_fma_f16 v62, v6, v3, v62
	;; [unrolled: 1-line block ×4, first 2 shown]
	v_mul_u32_u24_sdwa v3, v4, s15 dst_sel:DWORD dst_unused:UNUSED_PAD src0_sel:WORD_0 src1_sel:DWORD
	v_mul_u32_u24_sdwa v4, v4, s15 dst_sel:DWORD dst_unused:UNUSED_PAD src0_sel:WORD_1 src1_sel:DWORD
	s_waitcnt lgkmcnt(1)
	v_pk_fma_f16 v6, v9, v4, v61
	s_waitcnt lgkmcnt(0)
	v_pk_fma_f16 v53, v57, v3, v53
	v_pk_fma_f16 v54, v57, v4, v54
	;; [unrolled: 1-line block ×8, first 2 shown]
	v_add_co_u32_e32 v61, vcc, s18, v39
	v_mov_b32_e32 v1, s19
	v_pk_fma_f16 v8, v10, v4, v62
	v_addc_co_u32_e32 v62, vcc, v40, v1, vcc
	v_pk_fma_f16 v5, v9, v3, v65
	v_pk_fma_f16 v7, v10, v3, v66
	;; [unrolled: 1-line block ×6, first 2 shown]
	s_barrier
	global_load_dwordx4 v[1:4], v[61:62], off
	s_or_b32 s18, s6, 64
	s_mul_hi_i32 s19, s18, s8
	s_mul_i32 s18, s18, s8
	s_lshl_b64 s[18:19], s[18:19], 2
	s_waitcnt vmcnt(0)
	ds_write_b128 v36, v[1:4]
	global_load_dwordx4 v[1:4], v[61:62], off offset:512
	s_waitcnt vmcnt(0)
	ds_write_b128 v37, v[1:4]
	s_waitcnt lgkmcnt(0)
	s_barrier
	ds_read2_b64 v[61:64], v38 offset1:32
	ds_read2_b64 v[65:68], v38 offset0:64 offset1:96
	ds_read_b128 v[69:72], v35 offset:192
	ds_read_b128 v[73:76], v35 offset:208
	;; [unrolled: 1-line block ×4, first 2 shown]
	s_waitcnt lgkmcnt(3)
	v_mul_u32_u24_sdwa v81, v69, s15 dst_sel:DWORD dst_unused:UNUSED_PAD src0_sel:WORD_0 src1_sel:DWORD
	v_mul_u32_u24_sdwa v69, v69, s15 dst_sel:DWORD dst_unused:UNUSED_PAD src0_sel:WORD_1 src1_sel:DWORD
	v_pk_fma_f16 v82, v61, v81, v5
	v_pk_fma_f16 v61, v61, v69, v6
	;; [unrolled: 1-line block ×8, first 2 shown]
	ds_read2_b64 v[5:8], v38 offset0:128 offset1:160
	ds_read2_b64 v[9:12], v38 offset0:192 offset1:224
	v_pk_fma_f16 v53, v65, v81, v53
	v_pk_fma_f16 v54, v65, v69, v54
	;; [unrolled: 1-line block ×8, first 2 shown]
	v_mul_u32_u24_sdwa v65, v70, s15 dst_sel:DWORD dst_unused:UNUSED_PAD src0_sel:WORD_0 src1_sel:DWORD
	v_mul_u32_u24_sdwa v66, v70, s15 dst_sel:DWORD dst_unused:UNUSED_PAD src0_sel:WORD_1 src1_sel:DWORD
	s_waitcnt lgkmcnt(1)
	v_pk_fma_f16 v67, v5, v65, v82
	v_pk_fma_f16 v61, v5, v66, v61
	v_pk_fma_f16 v68, v6, v65, v83
	v_pk_fma_f16 v62, v6, v66, v62
	v_pk_fma_f16 v69, v7, v65, v84
	v_pk_fma_f16 v63, v7, v66, v63
	v_pk_fma_f16 v70, v8, v65, v85
	v_pk_fma_f16 v64, v8, v66, v64
	s_waitcnt lgkmcnt(0)
	v_pk_fma_f16 v53, v9, v65, v53
	v_pk_fma_f16 v54, v9, v66, v54
	v_pk_fma_f16 v55, v10, v65, v55
	v_pk_fma_f16 v56, v10, v66, v56
	v_pk_fma_f16 v57, v11, v65, v57
	v_pk_fma_f16 v58, v11, v66, v58
	v_pk_fma_f16 v59, v12, v65, v59
	v_pk_fma_f16 v60, v12, v66, v60
	ds_read2_b64 v[5:8], v45 offset1:32
	ds_read2_b64 v[9:12], v45 offset0:64 offset1:96
	v_mul_u32_u24_sdwa v65, v71, s15 dst_sel:DWORD dst_unused:UNUSED_PAD src0_sel:WORD_0 src1_sel:DWORD
	v_mul_u32_u24_sdwa v66, v71, s15 dst_sel:DWORD dst_unused:UNUSED_PAD src0_sel:WORD_1 src1_sel:DWORD
	s_waitcnt lgkmcnt(1)
	v_pk_fma_f16 v67, v5, v65, v67
	v_pk_fma_f16 v61, v5, v66, v61
	v_pk_fma_f16 v68, v6, v65, v68
	v_pk_fma_f16 v62, v6, v66, v62
	v_pk_fma_f16 v69, v7, v65, v69
	v_pk_fma_f16 v63, v7, v66, v63
	v_pk_fma_f16 v70, v8, v65, v70
	v_pk_fma_f16 v64, v8, v66, v64
	s_waitcnt lgkmcnt(0)
	v_pk_fma_f16 v53, v9, v65, v53
	v_pk_fma_f16 v54, v9, v66, v54
	v_pk_fma_f16 v55, v10, v65, v55
	v_pk_fma_f16 v56, v10, v66, v56
	v_pk_fma_f16 v57, v11, v65, v57
	v_pk_fma_f16 v58, v11, v66, v58
	v_pk_fma_f16 v59, v12, v65, v59
	v_pk_fma_f16 v60, v12, v66, v60
	ds_read2_b64 v[5:8], v45 offset0:128 offset1:160
	ds_read2_b64 v[9:12], v45 offset0:192 offset1:224
	v_mul_u32_u24_sdwa v65, v72, s15 dst_sel:DWORD dst_unused:UNUSED_PAD src0_sel:WORD_0 src1_sel:DWORD
	v_mul_u32_u24_sdwa v66, v72, s15 dst_sel:DWORD dst_unused:UNUSED_PAD src0_sel:WORD_1 src1_sel:DWORD
	s_waitcnt lgkmcnt(1)
	v_pk_fma_f16 v67, v5, v65, v67
	v_pk_fma_f16 v61, v5, v66, v61
	v_pk_fma_f16 v68, v6, v65, v68
	v_pk_fma_f16 v62, v6, v66, v62
	v_pk_fma_f16 v69, v7, v65, v69
	v_pk_fma_f16 v63, v7, v66, v63
	v_pk_fma_f16 v70, v8, v65, v70
	v_pk_fma_f16 v64, v8, v66, v64
	s_waitcnt lgkmcnt(0)
	v_pk_fma_f16 v53, v9, v65, v53
	v_pk_fma_f16 v54, v9, v66, v54
	v_pk_fma_f16 v55, v10, v65, v55
	v_pk_fma_f16 v56, v10, v66, v56
	v_pk_fma_f16 v57, v11, v65, v57
	v_pk_fma_f16 v58, v11, v66, v58
	v_pk_fma_f16 v59, v12, v65, v59
	v_pk_fma_f16 v60, v12, v66, v60
	ds_read2_b64 v[5:8], v46 offset1:32
	ds_read2_b64 v[9:12], v46 offset0:64 offset1:96
	v_mul_u32_u24_sdwa v65, v73, s15 dst_sel:DWORD dst_unused:UNUSED_PAD src0_sel:WORD_0 src1_sel:DWORD
	v_mul_u32_u24_sdwa v66, v73, s15 dst_sel:DWORD dst_unused:UNUSED_PAD src0_sel:WORD_1 src1_sel:DWORD
	s_waitcnt lgkmcnt(1)
	v_pk_fma_f16 v67, v5, v65, v67
	v_pk_fma_f16 v61, v5, v66, v61
	v_pk_fma_f16 v68, v6, v65, v68
	v_pk_fma_f16 v62, v6, v66, v62
	v_pk_fma_f16 v69, v7, v65, v69
	v_pk_fma_f16 v63, v7, v66, v63
	v_pk_fma_f16 v70, v8, v65, v70
	v_pk_fma_f16 v64, v8, v66, v64
	s_waitcnt lgkmcnt(0)
	v_pk_fma_f16 v53, v9, v65, v53
	v_pk_fma_f16 v54, v9, v66, v54
	v_pk_fma_f16 v55, v10, v65, v55
	v_pk_fma_f16 v56, v10, v66, v56
	v_pk_fma_f16 v57, v11, v65, v57
	v_pk_fma_f16 v58, v11, v66, v58
	v_pk_fma_f16 v59, v12, v65, v59
	v_pk_fma_f16 v60, v12, v66, v60
	ds_read2_b64 v[5:8], v46 offset0:128 offset1:160
	ds_read2_b64 v[9:12], v46 offset0:192 offset1:224
	;; [unrolled: 44-line block ×6, first 2 shown]
	v_mul_u32_u24_sdwa v60, v2, s15 dst_sel:DWORD dst_unused:UNUSED_PAD src0_sel:WORD_0 src1_sel:DWORD
	v_mul_u32_u24_sdwa v2, v2, s15 dst_sel:DWORD dst_unused:UNUSED_PAD src0_sel:WORD_1 src1_sel:DWORD
	s_waitcnt lgkmcnt(1)
	v_pk_fma_f16 v65, v5, v60, v66
	v_pk_fma_f16 v61, v5, v2, v61
	;; [unrolled: 1-line block ×8, first 2 shown]
	s_waitcnt lgkmcnt(0)
	v_pk_fma_f16 v53, v9, v60, v53
	v_pk_fma_f16 v54, v9, v2, v54
	;; [unrolled: 1-line block ×8, first 2 shown]
	ds_read2_b64 v[5:8], v51 offset1:32
	ds_read2_b64 v[9:12], v51 offset0:64 offset1:96
	v_mul_u32_u24_sdwa v2, v3, s15 dst_sel:DWORD dst_unused:UNUSED_PAD src0_sel:WORD_0 src1_sel:DWORD
	v_mul_u32_u24_sdwa v3, v3, s15 dst_sel:DWORD dst_unused:UNUSED_PAD src0_sel:WORD_1 src1_sel:DWORD
	s_waitcnt lgkmcnt(1)
	v_pk_fma_f16 v65, v5, v2, v65
	v_pk_fma_f16 v66, v6, v2, v66
	;; [unrolled: 1-line block ×4, first 2 shown]
	s_waitcnt lgkmcnt(0)
	v_pk_fma_f16 v53, v9, v2, v53
	v_pk_fma_f16 v54, v9, v3, v54
	;; [unrolled: 1-line block ×8, first 2 shown]
	ds_read2_b64 v[9:12], v51 offset0:128 offset1:160
	ds_read2_b64 v[57:60], v51 offset0:192 offset1:224
	v_pk_fma_f16 v61, v5, v3, v61
	v_pk_fma_f16 v62, v6, v3, v62
	;; [unrolled: 1-line block ×4, first 2 shown]
	v_mul_u32_u24_sdwa v3, v4, s15 dst_sel:DWORD dst_unused:UNUSED_PAD src0_sel:WORD_0 src1_sel:DWORD
	v_mul_u32_u24_sdwa v4, v4, s15 dst_sel:DWORD dst_unused:UNUSED_PAD src0_sel:WORD_1 src1_sel:DWORD
	s_waitcnt lgkmcnt(1)
	v_pk_fma_f16 v6, v9, v4, v61
	s_waitcnt lgkmcnt(0)
	v_pk_fma_f16 v53, v57, v3, v53
	v_pk_fma_f16 v54, v57, v4, v54
	v_pk_fma_f16 v55, v58, v3, v55
	v_pk_fma_f16 v56, v58, v4, v56
	v_pk_fma_f16 v57, v59, v3, v69
	v_pk_fma_f16 v58, v59, v4, v70
	v_pk_fma_f16 v59, v60, v3, v2
	v_pk_fma_f16 v60, v60, v4, v1
	v_add_co_u32_e32 v61, vcc, s18, v39
	v_mov_b32_e32 v1, s19
	v_pk_fma_f16 v8, v10, v4, v62
	v_addc_co_u32_e32 v62, vcc, v40, v1, vcc
	v_pk_fma_f16 v5, v9, v3, v65
	v_pk_fma_f16 v7, v10, v3, v66
	v_pk_fma_f16 v9, v11, v3, v67
	v_pk_fma_f16 v10, v11, v4, v63
	v_pk_fma_f16 v11, v12, v3, v68
	v_pk_fma_f16 v12, v12, v4, v64
	s_barrier
	global_load_dwordx4 v[1:4], v[61:62], off
	s_or_b32 s18, s6, 0x50
	s_mul_hi_i32 s19, s18, s8
	s_mul_i32 s18, s18, s8
	s_lshl_b64 s[18:19], s[18:19], 2
	s_waitcnt vmcnt(0)
	ds_write_b128 v36, v[1:4]
	global_load_dwordx4 v[1:4], v[61:62], off offset:512
	s_waitcnt vmcnt(0)
	ds_write_b128 v37, v[1:4]
	s_waitcnt lgkmcnt(0)
	s_barrier
	ds_read2_b64 v[61:64], v38 offset1:32
	ds_read2_b64 v[65:68], v38 offset0:64 offset1:96
	ds_read_b128 v[69:72], v35 offset:256
	ds_read_b128 v[73:76], v35 offset:272
	;; [unrolled: 1-line block ×4, first 2 shown]
	s_waitcnt lgkmcnt(3)
	v_mul_u32_u24_sdwa v81, v69, s15 dst_sel:DWORD dst_unused:UNUSED_PAD src0_sel:WORD_0 src1_sel:DWORD
	v_mul_u32_u24_sdwa v69, v69, s15 dst_sel:DWORD dst_unused:UNUSED_PAD src0_sel:WORD_1 src1_sel:DWORD
	v_pk_fma_f16 v82, v61, v81, v5
	v_pk_fma_f16 v61, v61, v69, v6
	;; [unrolled: 1-line block ×8, first 2 shown]
	ds_read2_b64 v[5:8], v38 offset0:128 offset1:160
	ds_read2_b64 v[9:12], v38 offset0:192 offset1:224
	v_pk_fma_f16 v53, v65, v81, v53
	v_pk_fma_f16 v54, v65, v69, v54
	;; [unrolled: 1-line block ×8, first 2 shown]
	v_mul_u32_u24_sdwa v65, v70, s15 dst_sel:DWORD dst_unused:UNUSED_PAD src0_sel:WORD_0 src1_sel:DWORD
	v_mul_u32_u24_sdwa v66, v70, s15 dst_sel:DWORD dst_unused:UNUSED_PAD src0_sel:WORD_1 src1_sel:DWORD
	s_waitcnt lgkmcnt(1)
	v_pk_fma_f16 v67, v5, v65, v82
	v_pk_fma_f16 v61, v5, v66, v61
	v_pk_fma_f16 v68, v6, v65, v83
	v_pk_fma_f16 v62, v6, v66, v62
	v_pk_fma_f16 v69, v7, v65, v84
	v_pk_fma_f16 v63, v7, v66, v63
	v_pk_fma_f16 v70, v8, v65, v85
	v_pk_fma_f16 v64, v8, v66, v64
	s_waitcnt lgkmcnt(0)
	v_pk_fma_f16 v53, v9, v65, v53
	v_pk_fma_f16 v54, v9, v66, v54
	v_pk_fma_f16 v55, v10, v65, v55
	v_pk_fma_f16 v56, v10, v66, v56
	v_pk_fma_f16 v57, v11, v65, v57
	v_pk_fma_f16 v58, v11, v66, v58
	v_pk_fma_f16 v59, v12, v65, v59
	v_pk_fma_f16 v60, v12, v66, v60
	ds_read2_b64 v[5:8], v45 offset1:32
	ds_read2_b64 v[9:12], v45 offset0:64 offset1:96
	v_mul_u32_u24_sdwa v65, v71, s15 dst_sel:DWORD dst_unused:UNUSED_PAD src0_sel:WORD_0 src1_sel:DWORD
	v_mul_u32_u24_sdwa v66, v71, s15 dst_sel:DWORD dst_unused:UNUSED_PAD src0_sel:WORD_1 src1_sel:DWORD
	s_waitcnt lgkmcnt(1)
	v_pk_fma_f16 v67, v5, v65, v67
	v_pk_fma_f16 v61, v5, v66, v61
	v_pk_fma_f16 v68, v6, v65, v68
	v_pk_fma_f16 v62, v6, v66, v62
	v_pk_fma_f16 v69, v7, v65, v69
	v_pk_fma_f16 v63, v7, v66, v63
	v_pk_fma_f16 v70, v8, v65, v70
	v_pk_fma_f16 v64, v8, v66, v64
	s_waitcnt lgkmcnt(0)
	v_pk_fma_f16 v53, v9, v65, v53
	v_pk_fma_f16 v54, v9, v66, v54
	v_pk_fma_f16 v55, v10, v65, v55
	v_pk_fma_f16 v56, v10, v66, v56
	v_pk_fma_f16 v57, v11, v65, v57
	v_pk_fma_f16 v58, v11, v66, v58
	v_pk_fma_f16 v59, v12, v65, v59
	v_pk_fma_f16 v60, v12, v66, v60
	ds_read2_b64 v[5:8], v45 offset0:128 offset1:160
	ds_read2_b64 v[9:12], v45 offset0:192 offset1:224
	v_mul_u32_u24_sdwa v65, v72, s15 dst_sel:DWORD dst_unused:UNUSED_PAD src0_sel:WORD_0 src1_sel:DWORD
	v_mul_u32_u24_sdwa v66, v72, s15 dst_sel:DWORD dst_unused:UNUSED_PAD src0_sel:WORD_1 src1_sel:DWORD
	s_waitcnt lgkmcnt(1)
	v_pk_fma_f16 v67, v5, v65, v67
	v_pk_fma_f16 v61, v5, v66, v61
	v_pk_fma_f16 v68, v6, v65, v68
	v_pk_fma_f16 v62, v6, v66, v62
	v_pk_fma_f16 v69, v7, v65, v69
	v_pk_fma_f16 v63, v7, v66, v63
	v_pk_fma_f16 v70, v8, v65, v70
	v_pk_fma_f16 v64, v8, v66, v64
	s_waitcnt lgkmcnt(0)
	v_pk_fma_f16 v53, v9, v65, v53
	v_pk_fma_f16 v54, v9, v66, v54
	v_pk_fma_f16 v55, v10, v65, v55
	v_pk_fma_f16 v56, v10, v66, v56
	v_pk_fma_f16 v57, v11, v65, v57
	v_pk_fma_f16 v58, v11, v66, v58
	v_pk_fma_f16 v59, v12, v65, v59
	v_pk_fma_f16 v60, v12, v66, v60
	ds_read2_b64 v[5:8], v46 offset1:32
	ds_read2_b64 v[9:12], v46 offset0:64 offset1:96
	v_mul_u32_u24_sdwa v65, v73, s15 dst_sel:DWORD dst_unused:UNUSED_PAD src0_sel:WORD_0 src1_sel:DWORD
	v_mul_u32_u24_sdwa v66, v73, s15 dst_sel:DWORD dst_unused:UNUSED_PAD src0_sel:WORD_1 src1_sel:DWORD
	s_waitcnt lgkmcnt(1)
	v_pk_fma_f16 v67, v5, v65, v67
	v_pk_fma_f16 v61, v5, v66, v61
	v_pk_fma_f16 v68, v6, v65, v68
	v_pk_fma_f16 v62, v6, v66, v62
	v_pk_fma_f16 v69, v7, v65, v69
	v_pk_fma_f16 v63, v7, v66, v63
	v_pk_fma_f16 v70, v8, v65, v70
	v_pk_fma_f16 v64, v8, v66, v64
	s_waitcnt lgkmcnt(0)
	v_pk_fma_f16 v53, v9, v65, v53
	v_pk_fma_f16 v54, v9, v66, v54
	v_pk_fma_f16 v55, v10, v65, v55
	v_pk_fma_f16 v56, v10, v66, v56
	v_pk_fma_f16 v57, v11, v65, v57
	v_pk_fma_f16 v58, v11, v66, v58
	v_pk_fma_f16 v59, v12, v65, v59
	v_pk_fma_f16 v60, v12, v66, v60
	ds_read2_b64 v[5:8], v46 offset0:128 offset1:160
	ds_read2_b64 v[9:12], v46 offset0:192 offset1:224
	;; [unrolled: 44-line block ×6, first 2 shown]
	v_mul_u32_u24_sdwa v60, v2, s15 dst_sel:DWORD dst_unused:UNUSED_PAD src0_sel:WORD_0 src1_sel:DWORD
	v_mul_u32_u24_sdwa v2, v2, s15 dst_sel:DWORD dst_unused:UNUSED_PAD src0_sel:WORD_1 src1_sel:DWORD
	s_waitcnt lgkmcnt(1)
	v_pk_fma_f16 v65, v5, v60, v66
	v_pk_fma_f16 v61, v5, v2, v61
	;; [unrolled: 1-line block ×8, first 2 shown]
	s_waitcnt lgkmcnt(0)
	v_pk_fma_f16 v53, v9, v60, v53
	v_pk_fma_f16 v54, v9, v2, v54
	;; [unrolled: 1-line block ×8, first 2 shown]
	ds_read2_b64 v[5:8], v51 offset1:32
	ds_read2_b64 v[9:12], v51 offset0:64 offset1:96
	v_mul_u32_u24_sdwa v2, v3, s15 dst_sel:DWORD dst_unused:UNUSED_PAD src0_sel:WORD_0 src1_sel:DWORD
	v_mul_u32_u24_sdwa v3, v3, s15 dst_sel:DWORD dst_unused:UNUSED_PAD src0_sel:WORD_1 src1_sel:DWORD
	s_waitcnt lgkmcnt(1)
	v_pk_fma_f16 v65, v5, v2, v65
	v_pk_fma_f16 v66, v6, v2, v66
	;; [unrolled: 1-line block ×4, first 2 shown]
	s_waitcnt lgkmcnt(0)
	v_pk_fma_f16 v53, v9, v2, v53
	v_pk_fma_f16 v54, v9, v3, v54
	;; [unrolled: 1-line block ×8, first 2 shown]
	ds_read2_b64 v[9:12], v51 offset0:128 offset1:160
	ds_read2_b64 v[57:60], v51 offset0:192 offset1:224
	v_pk_fma_f16 v61, v5, v3, v61
	v_pk_fma_f16 v62, v6, v3, v62
	v_pk_fma_f16 v63, v7, v3, v63
	v_pk_fma_f16 v64, v8, v3, v64
	v_mul_u32_u24_sdwa v3, v4, s15 dst_sel:DWORD dst_unused:UNUSED_PAD src0_sel:WORD_0 src1_sel:DWORD
	v_mul_u32_u24_sdwa v4, v4, s15 dst_sel:DWORD dst_unused:UNUSED_PAD src0_sel:WORD_1 src1_sel:DWORD
	s_waitcnt lgkmcnt(1)
	v_pk_fma_f16 v6, v9, v4, v61
	s_waitcnt lgkmcnt(0)
	v_pk_fma_f16 v53, v57, v3, v53
	v_pk_fma_f16 v54, v57, v4, v54
	;; [unrolled: 1-line block ×8, first 2 shown]
	v_add_co_u32_e32 v61, vcc, s18, v39
	v_mov_b32_e32 v1, s19
	v_pk_fma_f16 v8, v10, v4, v62
	v_addc_co_u32_e32 v62, vcc, v40, v1, vcc
	v_pk_fma_f16 v5, v9, v3, v65
	v_pk_fma_f16 v7, v10, v3, v66
	;; [unrolled: 1-line block ×6, first 2 shown]
	s_barrier
	global_load_dwordx4 v[1:4], v[61:62], off
	s_or_b32 s18, s6, 0x60
	s_mul_hi_i32 s19, s18, s8
	s_mul_i32 s18, s18, s8
	s_lshl_b64 s[18:19], s[18:19], 2
	s_waitcnt vmcnt(0)
	ds_write_b128 v36, v[1:4]
	global_load_dwordx4 v[1:4], v[61:62], off offset:512
	s_waitcnt vmcnt(0)
	ds_write_b128 v37, v[1:4]
	s_waitcnt lgkmcnt(0)
	s_barrier
	ds_read2_b64 v[61:64], v38 offset1:32
	ds_read2_b64 v[65:68], v38 offset0:64 offset1:96
	ds_read_b128 v[69:72], v35 offset:320
	ds_read_b128 v[73:76], v35 offset:336
	;; [unrolled: 1-line block ×4, first 2 shown]
	s_waitcnt lgkmcnt(3)
	v_mul_u32_u24_sdwa v81, v69, s15 dst_sel:DWORD dst_unused:UNUSED_PAD src0_sel:WORD_0 src1_sel:DWORD
	v_mul_u32_u24_sdwa v69, v69, s15 dst_sel:DWORD dst_unused:UNUSED_PAD src0_sel:WORD_1 src1_sel:DWORD
	v_pk_fma_f16 v82, v61, v81, v5
	v_pk_fma_f16 v61, v61, v69, v6
	;; [unrolled: 1-line block ×8, first 2 shown]
	ds_read2_b64 v[5:8], v38 offset0:128 offset1:160
	ds_read2_b64 v[9:12], v38 offset0:192 offset1:224
	v_pk_fma_f16 v53, v65, v81, v53
	v_pk_fma_f16 v54, v65, v69, v54
	;; [unrolled: 1-line block ×8, first 2 shown]
	v_mul_u32_u24_sdwa v65, v70, s15 dst_sel:DWORD dst_unused:UNUSED_PAD src0_sel:WORD_0 src1_sel:DWORD
	v_mul_u32_u24_sdwa v66, v70, s15 dst_sel:DWORD dst_unused:UNUSED_PAD src0_sel:WORD_1 src1_sel:DWORD
	s_waitcnt lgkmcnt(1)
	v_pk_fma_f16 v67, v5, v65, v82
	v_pk_fma_f16 v61, v5, v66, v61
	v_pk_fma_f16 v68, v6, v65, v83
	v_pk_fma_f16 v62, v6, v66, v62
	v_pk_fma_f16 v69, v7, v65, v84
	v_pk_fma_f16 v63, v7, v66, v63
	v_pk_fma_f16 v70, v8, v65, v85
	v_pk_fma_f16 v64, v8, v66, v64
	s_waitcnt lgkmcnt(0)
	v_pk_fma_f16 v53, v9, v65, v53
	v_pk_fma_f16 v54, v9, v66, v54
	v_pk_fma_f16 v55, v10, v65, v55
	v_pk_fma_f16 v56, v10, v66, v56
	v_pk_fma_f16 v57, v11, v65, v57
	v_pk_fma_f16 v58, v11, v66, v58
	v_pk_fma_f16 v59, v12, v65, v59
	v_pk_fma_f16 v60, v12, v66, v60
	ds_read2_b64 v[5:8], v45 offset1:32
	ds_read2_b64 v[9:12], v45 offset0:64 offset1:96
	v_mul_u32_u24_sdwa v65, v71, s15 dst_sel:DWORD dst_unused:UNUSED_PAD src0_sel:WORD_0 src1_sel:DWORD
	v_mul_u32_u24_sdwa v66, v71, s15 dst_sel:DWORD dst_unused:UNUSED_PAD src0_sel:WORD_1 src1_sel:DWORD
	s_waitcnt lgkmcnt(1)
	v_pk_fma_f16 v67, v5, v65, v67
	v_pk_fma_f16 v61, v5, v66, v61
	v_pk_fma_f16 v68, v6, v65, v68
	v_pk_fma_f16 v62, v6, v66, v62
	v_pk_fma_f16 v69, v7, v65, v69
	v_pk_fma_f16 v63, v7, v66, v63
	v_pk_fma_f16 v70, v8, v65, v70
	v_pk_fma_f16 v64, v8, v66, v64
	s_waitcnt lgkmcnt(0)
	v_pk_fma_f16 v53, v9, v65, v53
	v_pk_fma_f16 v54, v9, v66, v54
	v_pk_fma_f16 v55, v10, v65, v55
	v_pk_fma_f16 v56, v10, v66, v56
	v_pk_fma_f16 v57, v11, v65, v57
	v_pk_fma_f16 v58, v11, v66, v58
	v_pk_fma_f16 v59, v12, v65, v59
	v_pk_fma_f16 v60, v12, v66, v60
	ds_read2_b64 v[5:8], v45 offset0:128 offset1:160
	ds_read2_b64 v[9:12], v45 offset0:192 offset1:224
	v_mul_u32_u24_sdwa v65, v72, s15 dst_sel:DWORD dst_unused:UNUSED_PAD src0_sel:WORD_0 src1_sel:DWORD
	v_mul_u32_u24_sdwa v66, v72, s15 dst_sel:DWORD dst_unused:UNUSED_PAD src0_sel:WORD_1 src1_sel:DWORD
	s_waitcnt lgkmcnt(1)
	v_pk_fma_f16 v67, v5, v65, v67
	v_pk_fma_f16 v61, v5, v66, v61
	v_pk_fma_f16 v68, v6, v65, v68
	v_pk_fma_f16 v62, v6, v66, v62
	v_pk_fma_f16 v69, v7, v65, v69
	v_pk_fma_f16 v63, v7, v66, v63
	v_pk_fma_f16 v70, v8, v65, v70
	v_pk_fma_f16 v64, v8, v66, v64
	s_waitcnt lgkmcnt(0)
	v_pk_fma_f16 v53, v9, v65, v53
	v_pk_fma_f16 v54, v9, v66, v54
	v_pk_fma_f16 v55, v10, v65, v55
	v_pk_fma_f16 v56, v10, v66, v56
	v_pk_fma_f16 v57, v11, v65, v57
	v_pk_fma_f16 v58, v11, v66, v58
	v_pk_fma_f16 v59, v12, v65, v59
	v_pk_fma_f16 v60, v12, v66, v60
	ds_read2_b64 v[5:8], v46 offset1:32
	ds_read2_b64 v[9:12], v46 offset0:64 offset1:96
	v_mul_u32_u24_sdwa v65, v73, s15 dst_sel:DWORD dst_unused:UNUSED_PAD src0_sel:WORD_0 src1_sel:DWORD
	v_mul_u32_u24_sdwa v66, v73, s15 dst_sel:DWORD dst_unused:UNUSED_PAD src0_sel:WORD_1 src1_sel:DWORD
	s_waitcnt lgkmcnt(1)
	v_pk_fma_f16 v67, v5, v65, v67
	v_pk_fma_f16 v61, v5, v66, v61
	v_pk_fma_f16 v68, v6, v65, v68
	v_pk_fma_f16 v62, v6, v66, v62
	v_pk_fma_f16 v69, v7, v65, v69
	v_pk_fma_f16 v63, v7, v66, v63
	v_pk_fma_f16 v70, v8, v65, v70
	v_pk_fma_f16 v64, v8, v66, v64
	s_waitcnt lgkmcnt(0)
	v_pk_fma_f16 v53, v9, v65, v53
	v_pk_fma_f16 v54, v9, v66, v54
	v_pk_fma_f16 v55, v10, v65, v55
	v_pk_fma_f16 v56, v10, v66, v56
	v_pk_fma_f16 v57, v11, v65, v57
	v_pk_fma_f16 v58, v11, v66, v58
	v_pk_fma_f16 v59, v12, v65, v59
	v_pk_fma_f16 v60, v12, v66, v60
	ds_read2_b64 v[5:8], v46 offset0:128 offset1:160
	ds_read2_b64 v[9:12], v46 offset0:192 offset1:224
	;; [unrolled: 44-line block ×6, first 2 shown]
	v_mul_u32_u24_sdwa v60, v2, s15 dst_sel:DWORD dst_unused:UNUSED_PAD src0_sel:WORD_0 src1_sel:DWORD
	v_mul_u32_u24_sdwa v2, v2, s15 dst_sel:DWORD dst_unused:UNUSED_PAD src0_sel:WORD_1 src1_sel:DWORD
	s_waitcnt lgkmcnt(1)
	v_pk_fma_f16 v65, v5, v60, v66
	v_pk_fma_f16 v61, v5, v2, v61
	;; [unrolled: 1-line block ×8, first 2 shown]
	s_waitcnt lgkmcnt(0)
	v_pk_fma_f16 v53, v9, v60, v53
	v_pk_fma_f16 v54, v9, v2, v54
	;; [unrolled: 1-line block ×8, first 2 shown]
	ds_read2_b64 v[5:8], v51 offset1:32
	ds_read2_b64 v[9:12], v51 offset0:64 offset1:96
	v_mul_u32_u24_sdwa v2, v3, s15 dst_sel:DWORD dst_unused:UNUSED_PAD src0_sel:WORD_0 src1_sel:DWORD
	v_mul_u32_u24_sdwa v3, v3, s15 dst_sel:DWORD dst_unused:UNUSED_PAD src0_sel:WORD_1 src1_sel:DWORD
	s_waitcnt lgkmcnt(1)
	v_pk_fma_f16 v65, v5, v2, v65
	v_pk_fma_f16 v66, v6, v2, v66
	;; [unrolled: 1-line block ×4, first 2 shown]
	s_waitcnt lgkmcnt(0)
	v_pk_fma_f16 v53, v9, v2, v53
	v_pk_fma_f16 v54, v9, v3, v54
	;; [unrolled: 1-line block ×8, first 2 shown]
	ds_read2_b64 v[9:12], v51 offset0:128 offset1:160
	ds_read2_b64 v[57:60], v51 offset0:192 offset1:224
	v_pk_fma_f16 v61, v5, v3, v61
	v_pk_fma_f16 v62, v6, v3, v62
	;; [unrolled: 1-line block ×4, first 2 shown]
	v_mul_u32_u24_sdwa v3, v4, s15 dst_sel:DWORD dst_unused:UNUSED_PAD src0_sel:WORD_0 src1_sel:DWORD
	v_mul_u32_u24_sdwa v4, v4, s15 dst_sel:DWORD dst_unused:UNUSED_PAD src0_sel:WORD_1 src1_sel:DWORD
	s_waitcnt lgkmcnt(1)
	v_pk_fma_f16 v6, v9, v4, v61
	s_waitcnt lgkmcnt(0)
	v_pk_fma_f16 v53, v57, v3, v53
	v_pk_fma_f16 v54, v57, v4, v54
	v_pk_fma_f16 v55, v58, v3, v55
	v_pk_fma_f16 v56, v58, v4, v56
	v_pk_fma_f16 v57, v59, v3, v69
	v_pk_fma_f16 v58, v59, v4, v70
	v_pk_fma_f16 v59, v60, v3, v2
	v_pk_fma_f16 v60, v60, v4, v1
	v_add_co_u32_e32 v61, vcc, s18, v39
	v_mov_b32_e32 v1, s19
	v_pk_fma_f16 v8, v10, v4, v62
	v_addc_co_u32_e32 v62, vcc, v40, v1, vcc
	v_pk_fma_f16 v5, v9, v3, v65
	v_pk_fma_f16 v7, v10, v3, v66
	;; [unrolled: 1-line block ×6, first 2 shown]
	s_barrier
	global_load_dwordx4 v[1:4], v[61:62], off
	s_or_b32 s18, s6, 0x70
	s_mul_hi_i32 s19, s18, s8
	s_mul_i32 s18, s18, s8
	s_lshl_b64 s[18:19], s[18:19], 2
	s_waitcnt vmcnt(0)
	ds_write_b128 v36, v[1:4]
	global_load_dwordx4 v[1:4], v[61:62], off offset:512
	s_waitcnt vmcnt(0)
	ds_write_b128 v37, v[1:4]
	s_waitcnt lgkmcnt(0)
	s_barrier
	ds_read2_b64 v[61:64], v38 offset1:32
	ds_read2_b64 v[65:68], v38 offset0:64 offset1:96
	ds_read_b128 v[69:72], v35 offset:384
	ds_read_b128 v[73:76], v35 offset:400
	;; [unrolled: 1-line block ×4, first 2 shown]
	s_waitcnt lgkmcnt(3)
	v_mul_u32_u24_sdwa v81, v69, s15 dst_sel:DWORD dst_unused:UNUSED_PAD src0_sel:WORD_0 src1_sel:DWORD
	v_mul_u32_u24_sdwa v69, v69, s15 dst_sel:DWORD dst_unused:UNUSED_PAD src0_sel:WORD_1 src1_sel:DWORD
	v_pk_fma_f16 v82, v61, v81, v5
	v_pk_fma_f16 v61, v61, v69, v6
	;; [unrolled: 1-line block ×8, first 2 shown]
	ds_read2_b64 v[5:8], v38 offset0:128 offset1:160
	ds_read2_b64 v[9:12], v38 offset0:192 offset1:224
	v_pk_fma_f16 v53, v65, v81, v53
	v_pk_fma_f16 v54, v65, v69, v54
	;; [unrolled: 1-line block ×8, first 2 shown]
	v_mul_u32_u24_sdwa v65, v70, s15 dst_sel:DWORD dst_unused:UNUSED_PAD src0_sel:WORD_0 src1_sel:DWORD
	v_mul_u32_u24_sdwa v66, v70, s15 dst_sel:DWORD dst_unused:UNUSED_PAD src0_sel:WORD_1 src1_sel:DWORD
	s_waitcnt lgkmcnt(1)
	v_pk_fma_f16 v67, v5, v65, v82
	v_pk_fma_f16 v61, v5, v66, v61
	v_pk_fma_f16 v68, v6, v65, v83
	v_pk_fma_f16 v62, v6, v66, v62
	v_pk_fma_f16 v69, v7, v65, v84
	v_pk_fma_f16 v63, v7, v66, v63
	v_pk_fma_f16 v70, v8, v65, v85
	v_pk_fma_f16 v64, v8, v66, v64
	s_waitcnt lgkmcnt(0)
	v_pk_fma_f16 v53, v9, v65, v53
	v_pk_fma_f16 v54, v9, v66, v54
	v_pk_fma_f16 v55, v10, v65, v55
	v_pk_fma_f16 v56, v10, v66, v56
	v_pk_fma_f16 v57, v11, v65, v57
	v_pk_fma_f16 v58, v11, v66, v58
	v_pk_fma_f16 v59, v12, v65, v59
	v_pk_fma_f16 v60, v12, v66, v60
	ds_read2_b64 v[5:8], v45 offset1:32
	ds_read2_b64 v[9:12], v45 offset0:64 offset1:96
	v_mul_u32_u24_sdwa v65, v71, s15 dst_sel:DWORD dst_unused:UNUSED_PAD src0_sel:WORD_0 src1_sel:DWORD
	v_mul_u32_u24_sdwa v66, v71, s15 dst_sel:DWORD dst_unused:UNUSED_PAD src0_sel:WORD_1 src1_sel:DWORD
	s_waitcnt lgkmcnt(1)
	v_pk_fma_f16 v67, v5, v65, v67
	v_pk_fma_f16 v61, v5, v66, v61
	v_pk_fma_f16 v68, v6, v65, v68
	v_pk_fma_f16 v62, v6, v66, v62
	v_pk_fma_f16 v69, v7, v65, v69
	v_pk_fma_f16 v63, v7, v66, v63
	v_pk_fma_f16 v70, v8, v65, v70
	v_pk_fma_f16 v64, v8, v66, v64
	s_waitcnt lgkmcnt(0)
	v_pk_fma_f16 v53, v9, v65, v53
	v_pk_fma_f16 v54, v9, v66, v54
	v_pk_fma_f16 v55, v10, v65, v55
	v_pk_fma_f16 v56, v10, v66, v56
	v_pk_fma_f16 v57, v11, v65, v57
	v_pk_fma_f16 v58, v11, v66, v58
	v_pk_fma_f16 v59, v12, v65, v59
	v_pk_fma_f16 v60, v12, v66, v60
	ds_read2_b64 v[5:8], v45 offset0:128 offset1:160
	ds_read2_b64 v[9:12], v45 offset0:192 offset1:224
	v_mul_u32_u24_sdwa v65, v72, s15 dst_sel:DWORD dst_unused:UNUSED_PAD src0_sel:WORD_0 src1_sel:DWORD
	v_mul_u32_u24_sdwa v66, v72, s15 dst_sel:DWORD dst_unused:UNUSED_PAD src0_sel:WORD_1 src1_sel:DWORD
	s_waitcnt lgkmcnt(1)
	v_pk_fma_f16 v67, v5, v65, v67
	v_pk_fma_f16 v61, v5, v66, v61
	v_pk_fma_f16 v68, v6, v65, v68
	v_pk_fma_f16 v62, v6, v66, v62
	v_pk_fma_f16 v69, v7, v65, v69
	v_pk_fma_f16 v63, v7, v66, v63
	v_pk_fma_f16 v70, v8, v65, v70
	v_pk_fma_f16 v64, v8, v66, v64
	s_waitcnt lgkmcnt(0)
	v_pk_fma_f16 v53, v9, v65, v53
	v_pk_fma_f16 v54, v9, v66, v54
	v_pk_fma_f16 v55, v10, v65, v55
	v_pk_fma_f16 v56, v10, v66, v56
	v_pk_fma_f16 v57, v11, v65, v57
	v_pk_fma_f16 v58, v11, v66, v58
	v_pk_fma_f16 v59, v12, v65, v59
	v_pk_fma_f16 v60, v12, v66, v60
	ds_read2_b64 v[5:8], v46 offset1:32
	ds_read2_b64 v[9:12], v46 offset0:64 offset1:96
	v_mul_u32_u24_sdwa v65, v73, s15 dst_sel:DWORD dst_unused:UNUSED_PAD src0_sel:WORD_0 src1_sel:DWORD
	v_mul_u32_u24_sdwa v66, v73, s15 dst_sel:DWORD dst_unused:UNUSED_PAD src0_sel:WORD_1 src1_sel:DWORD
	s_waitcnt lgkmcnt(1)
	v_pk_fma_f16 v67, v5, v65, v67
	v_pk_fma_f16 v61, v5, v66, v61
	v_pk_fma_f16 v68, v6, v65, v68
	v_pk_fma_f16 v62, v6, v66, v62
	v_pk_fma_f16 v69, v7, v65, v69
	v_pk_fma_f16 v63, v7, v66, v63
	v_pk_fma_f16 v70, v8, v65, v70
	v_pk_fma_f16 v64, v8, v66, v64
	s_waitcnt lgkmcnt(0)
	v_pk_fma_f16 v53, v9, v65, v53
	v_pk_fma_f16 v54, v9, v66, v54
	v_pk_fma_f16 v55, v10, v65, v55
	v_pk_fma_f16 v56, v10, v66, v56
	v_pk_fma_f16 v57, v11, v65, v57
	v_pk_fma_f16 v58, v11, v66, v58
	v_pk_fma_f16 v59, v12, v65, v59
	v_pk_fma_f16 v60, v12, v66, v60
	ds_read2_b64 v[5:8], v46 offset0:128 offset1:160
	ds_read2_b64 v[9:12], v46 offset0:192 offset1:224
	;; [unrolled: 44-line block ×7, first 2 shown]
	v_mul_u32_u24_sdwa v3, v4, s15 dst_sel:DWORD dst_unused:UNUSED_PAD src0_sel:WORD_0 src1_sel:DWORD
	v_mul_u32_u24_sdwa v4, v4, s15 dst_sel:DWORD dst_unused:UNUSED_PAD src0_sel:WORD_1 src1_sel:DWORD
	s_waitcnt lgkmcnt(0)
	v_pk_fma_f16 v54, v5, v4, v61
	v_pk_fma_f16 v59, v8, v3, v67
	;; [unrolled: 1-line block ×5, first 2 shown]
	v_add_co_u32_e32 v1, vcc, s18, v39
	v_mov_b32_e32 v2, s19
	v_addc_co_u32_e32 v2, vcc, v40, v2, vcc
	v_pk_fma_f16 v53, v5, v3, v60
	v_pk_fma_f16 v55, v6, v3, v65
	;; [unrolled: 1-line block ×11, first 2 shown]
	s_barrier
	global_load_dwordx4 v[3:6], v[1:2], off
	s_waitcnt vmcnt(0)
	ds_write_b128 v36, v[3:6]
	global_load_dwordx4 v[1:4], v[1:2], off offset:512
	s_waitcnt vmcnt(0)
	ds_write_b128 v37, v[1:4]
	s_waitcnt lgkmcnt(0)
	s_barrier
	ds_read2_b64 v[69:72], v38 offset1:32
	ds_read2_b64 v[73:76], v38 offset0:64 offset1:96
	ds_read_b128 v[77:80], v35 offset:448
	ds_read_b128 v[9:12], v35 offset:464
	;; [unrolled: 1-line block ×4, first 2 shown]
	s_waitcnt lgkmcnt(3)
	v_mul_u32_u24_sdwa v81, v77, s15 dst_sel:DWORD dst_unused:UNUSED_PAD src0_sel:WORD_0 src1_sel:DWORD
	v_mul_u32_u24_sdwa v77, v77, s15 dst_sel:DWORD dst_unused:UNUSED_PAD src0_sel:WORD_1 src1_sel:DWORD
	v_pk_fma_f16 v82, v69, v81, v53
	v_pk_fma_f16 v69, v69, v77, v54
	v_pk_fma_f16 v83, v70, v81, v55
	v_pk_fma_f16 v70, v70, v77, v56
	v_pk_fma_f16 v84, v71, v81, v57
	v_pk_fma_f16 v71, v71, v77, v58
	v_pk_fma_f16 v85, v72, v81, v59
	v_pk_fma_f16 v72, v72, v77, v60
	ds_read2_b64 v[53:56], v38 offset0:128 offset1:160
	ds_read2_b64 v[57:60], v38 offset0:192 offset1:224
	v_pk_fma_f16 v61, v73, v81, v61
	v_pk_fma_f16 v62, v73, v77, v62
	v_pk_fma_f16 v63, v74, v81, v63
	v_pk_fma_f16 v64, v74, v77, v64
	v_pk_fma_f16 v65, v75, v81, v65
	v_pk_fma_f16 v66, v75, v77, v66
	v_pk_fma_f16 v67, v76, v81, v67
	v_pk_fma_f16 v68, v76, v77, v68
	v_mul_u32_u24_sdwa v73, v78, s15 dst_sel:DWORD dst_unused:UNUSED_PAD src0_sel:WORD_0 src1_sel:DWORD
	v_mul_u32_u24_sdwa v74, v78, s15 dst_sel:DWORD dst_unused:UNUSED_PAD src0_sel:WORD_1 src1_sel:DWORD
	s_waitcnt lgkmcnt(1)
	v_pk_fma_f16 v75, v53, v73, v82
	v_pk_fma_f16 v69, v53, v74, v69
	v_pk_fma_f16 v76, v54, v73, v83
	v_pk_fma_f16 v70, v54, v74, v70
	v_pk_fma_f16 v77, v55, v73, v84
	v_pk_fma_f16 v71, v55, v74, v71
	v_pk_fma_f16 v78, v56, v73, v85
	v_pk_fma_f16 v72, v56, v74, v72
	s_waitcnt lgkmcnt(0)
	v_pk_fma_f16 v61, v57, v73, v61
	v_pk_fma_f16 v62, v57, v74, v62
	v_pk_fma_f16 v63, v58, v73, v63
	v_pk_fma_f16 v64, v58, v74, v64
	v_pk_fma_f16 v65, v59, v73, v65
	v_pk_fma_f16 v66, v59, v74, v66
	v_pk_fma_f16 v67, v60, v73, v67
	v_pk_fma_f16 v68, v60, v74, v68
	ds_read2_b64 v[53:56], v45 offset1:32
	ds_read2_b64 v[57:60], v45 offset0:64 offset1:96
	v_mul_u32_u24_sdwa v73, v79, s15 dst_sel:DWORD dst_unused:UNUSED_PAD src0_sel:WORD_0 src1_sel:DWORD
	v_mul_u32_u24_sdwa v74, v79, s15 dst_sel:DWORD dst_unused:UNUSED_PAD src0_sel:WORD_1 src1_sel:DWORD
	s_waitcnt lgkmcnt(1)
	v_pk_fma_f16 v75, v53, v73, v75
	v_pk_fma_f16 v69, v53, v74, v69
	v_pk_fma_f16 v76, v54, v73, v76
	v_pk_fma_f16 v70, v54, v74, v70
	v_pk_fma_f16 v77, v55, v73, v77
	v_pk_fma_f16 v71, v55, v74, v71
	v_pk_fma_f16 v78, v56, v73, v78
	v_pk_fma_f16 v72, v56, v74, v72
	s_waitcnt lgkmcnt(0)
	v_pk_fma_f16 v61, v57, v73, v61
	v_pk_fma_f16 v62, v57, v74, v62
	v_pk_fma_f16 v63, v58, v73, v63
	v_pk_fma_f16 v64, v58, v74, v64
	v_pk_fma_f16 v65, v59, v73, v65
	v_pk_fma_f16 v66, v59, v74, v66
	v_pk_fma_f16 v67, v60, v73, v67
	v_pk_fma_f16 v68, v60, v74, v68
	ds_read2_b64 v[53:56], v45 offset0:128 offset1:160
	ds_read2_b64 v[57:60], v45 offset0:192 offset1:224
	v_mul_u32_u24_sdwa v73, v80, s15 dst_sel:DWORD dst_unused:UNUSED_PAD src0_sel:WORD_0 src1_sel:DWORD
	v_mul_u32_u24_sdwa v74, v80, s15 dst_sel:DWORD dst_unused:UNUSED_PAD src0_sel:WORD_1 src1_sel:DWORD
	s_waitcnt lgkmcnt(1)
	v_pk_fma_f16 v75, v53, v73, v75
	v_pk_fma_f16 v69, v53, v74, v69
	v_pk_fma_f16 v76, v54, v73, v76
	v_pk_fma_f16 v70, v54, v74, v70
	v_pk_fma_f16 v77, v55, v73, v77
	v_pk_fma_f16 v71, v55, v74, v71
	v_pk_fma_f16 v78, v56, v73, v78
	v_pk_fma_f16 v72, v56, v74, v72
	s_waitcnt lgkmcnt(0)
	v_pk_fma_f16 v61, v57, v73, v61
	v_pk_fma_f16 v62, v57, v74, v62
	v_pk_fma_f16 v63, v58, v73, v63
	v_pk_fma_f16 v64, v58, v74, v64
	v_pk_fma_f16 v65, v59, v73, v65
	v_pk_fma_f16 v66, v59, v74, v66
	v_pk_fma_f16 v67, v60, v73, v67
	v_pk_fma_f16 v68, v60, v74, v68
	ds_read2_b64 v[53:56], v46 offset1:32
	ds_read2_b64 v[57:60], v46 offset0:64 offset1:96
	v_mul_u32_u24_sdwa v73, v9, s15 dst_sel:DWORD dst_unused:UNUSED_PAD src0_sel:WORD_0 src1_sel:DWORD
	v_mul_u32_u24_sdwa v9, v9, s15 dst_sel:DWORD dst_unused:UNUSED_PAD src0_sel:WORD_1 src1_sel:DWORD
	s_waitcnt lgkmcnt(1)
	v_pk_fma_f16 v74, v53, v73, v75
	v_pk_fma_f16 v69, v53, v9, v69
	v_pk_fma_f16 v75, v54, v73, v76
	v_pk_fma_f16 v70, v54, v9, v70
	v_pk_fma_f16 v76, v55, v73, v77
	v_pk_fma_f16 v71, v55, v9, v71
	v_pk_fma_f16 v77, v56, v73, v78
	v_pk_fma_f16 v72, v56, v9, v72
	s_waitcnt lgkmcnt(0)
	v_pk_fma_f16 v61, v57, v73, v61
	v_pk_fma_f16 v62, v57, v9, v62
	v_pk_fma_f16 v63, v58, v73, v63
	v_pk_fma_f16 v64, v58, v9, v64
	v_pk_fma_f16 v65, v59, v73, v65
	v_pk_fma_f16 v66, v59, v9, v66
	v_pk_fma_f16 v67, v60, v73, v67
	v_pk_fma_f16 v9, v60, v9, v68
	ds_read2_b64 v[53:56], v46 offset0:128 offset1:160
	ds_read2_b64 v[57:60], v46 offset0:192 offset1:224
	;; [unrolled: 44-line block ×6, first 2 shown]
	v_mul_u32_u24_sdwa v56, v2, s15 dst_sel:DWORD dst_unused:UNUSED_PAD src0_sel:WORD_0 src1_sel:DWORD
	v_mul_u32_u24_sdwa v2, v2, s15 dst_sel:DWORD dst_unused:UNUSED_PAD src0_sel:WORD_1 src1_sel:DWORD
	s_waitcnt lgkmcnt(1)
	v_pk_fma_f16 v60, v5, v56, v60
	v_pk_fma_f16 v62, v5, v2, v63
	;; [unrolled: 1-line block ×8, first 2 shown]
	s_waitcnt lgkmcnt(0)
	v_pk_fma_f16 v61, v9, v56, v61
	v_pk_fma_f16 v53, v9, v2, v53
	;; [unrolled: 1-line block ×8, first 2 shown]
	ds_read2_b64 v[5:8], v51 offset1:32
	ds_read2_b64 v[9:12], v51 offset0:64 offset1:96
	v_mul_u32_u24_sdwa v2, v3, s15 dst_sel:DWORD dst_unused:UNUSED_PAD src0_sel:WORD_0 src1_sel:DWORD
	v_mul_u32_u24_sdwa v3, v3, s15 dst_sel:DWORD dst_unused:UNUSED_PAD src0_sel:WORD_1 src1_sel:DWORD
	s_waitcnt lgkmcnt(1)
	v_pk_fma_f16 v59, v5, v2, v60
	v_pk_fma_f16 v5, v5, v3, v62
	;; [unrolled: 1-line block ×8, first 2 shown]
	s_waitcnt lgkmcnt(0)
	v_pk_fma_f16 v70, v9, v2, v61
	v_pk_fma_f16 v71, v9, v3, v53
	ds_read2_b64 v[6:9], v51 offset0:128 offset1:160
	ds_read2_b64 v[61:64], v51 offset0:192 offset1:224
	s_waitcnt lgkmcnt(0)
	s_barrier
	s_load_dword s18, s[0:1], 0x4
	v_pk_fma_f16 v57, v10, v2, v57
	v_pk_fma_f16 v54, v10, v3, v54
	;; [unrolled: 1-line block ×4, first 2 shown]
	s_waitcnt lgkmcnt(0)
	s_lshl_b32 s18, s18, 7
	v_pk_fma_f16 v2, v12, v2, v56
	v_pk_fma_f16 v1, v12, v3, v1
	v_mul_u32_u24_sdwa v3, v4, s15 dst_sel:DWORD dst_unused:UNUSED_PAD src0_sel:WORD_0 src1_sel:DWORD
	v_mul_u32_u24_sdwa v4, v4, s15 dst_sel:DWORD dst_unused:UNUSED_PAD src0_sel:WORD_1 src1_sel:DWORD
	s_add_i32 s6, s18, s6
	v_pk_fma_f16 v53, v6, v3, v59
	v_pk_fma_f16 v6, v6, v4, v5
	;; [unrolled: 1-line block ×16, first 2 shown]
	s_cmp_ge_i32 s6, s24
	s_cbranch_scc0 .LBB9_13
.LBB9_14:
	v_cmp_lt_i32_e32 vcc, v30, v25
	v_cndmask_b32_e32 v1, v24, v30, vcc
	v_lshlrev_b32_e32 v1, 2, v1
	ds_bpermute_b32 v2, v1, v52
	ds_bpermute_b32 v1, v1, v31
	v_cmp_lt_i32_e32 vcc, v29, v25
	v_cndmask_b32_e32 v3, v24, v29, vcc
	v_lshlrev_b32_e32 v3, 2, v3
	s_waitcnt lgkmcnt(1)
	v_add_f32_e32 v2, v52, v2
	s_waitcnt lgkmcnt(0)
	v_add_f32_e32 v1, v31, v1
	ds_bpermute_b32 v4, v3, v2
	ds_bpermute_b32 v3, v3, v1
	v_cmp_lt_i32_e32 vcc, v28, v25
	v_cndmask_b32_e32 v13, v24, v28, vcc
	v_lshlrev_b32_e32 v13, 2, v13
	s_waitcnt lgkmcnt(1)
	v_add_f32_e32 v2, v2, v4
	s_waitcnt lgkmcnt(0)
	v_add_f32_e32 v1, v1, v3
	;; [unrolled: 9-line block ×4, first 2 shown]
	ds_bpermute_b32 v4, v13, v2
	ds_bpermute_b32 v13, v13, v3
	s_cmp_lg_u64 s[16:17], 0
	s_cselect_b64 s[0:1], -1, 0
	s_cmp_eq_u32 s7, 0
	s_cselect_b64 s[8:9], -1, 0
	s_and_b64 s[0:1], s[8:9], s[0:1]
	s_waitcnt lgkmcnt(1)
	v_add_f32_e32 v1, v2, v4
	s_waitcnt lgkmcnt(0)
	v_add_f32_e32 v2, v3, v13
	s_and_b64 vcc, exec, s[0:1]
	s_cbranch_vccz .LBB9_17
; %bb.15:
	v_add_u32_e32 v3, s25, v21
	v_ashrrev_i32_e32 v4, 31, v3
	v_lshlrev_b64 v[3:4], 2, v[3:4]
	v_mov_b32_e32 v13, s17
	v_add_co_u32_e32 v3, vcc, s16, v3
	v_addc_co_u32_e32 v4, vcc, v13, v4, vcc
	global_load_dwordx2 v[3:4], v[3:4], off
	v_max_f32_e32 v13, v18, v18
	v_max_f32_e32 v14, v19, v19
	s_mov_b32 s0, 0x3fb8aa3b
	s_mov_b32 s1, 0xc2ce8ed0
	;; [unrolled: 1-line block ×3, first 2 shown]
	v_mov_b32_e32 v15, 0x7f800000
	s_waitcnt vmcnt(0)
	v_max_f32_e32 v16, v3, v3
	v_max_f32_e32 v17, v4, v4
	;; [unrolled: 1-line block ×4, first 2 shown]
	v_sub_f32_e32 v16, v18, v13
	v_sub_f32_e32 v17, v19, v14
	v_mov_b32_e32 v19, v14
	v_sub_f32_e32 v3, v3, v13
	v_mov_b32_e32 v18, v13
	v_mul_f32_e32 v13, 0x3fb8aa3b, v16
	v_sub_f32_e32 v4, v4, v14
	v_mul_f32_e32 v14, 0x3fb8aa3b, v3
	v_fma_f32 v25, v16, s0, -v13
	v_rndne_f32_e32 v26, v13
	v_mul_f32_e32 v23, 0x3fb8aa3b, v17
	v_fma_f32 v27, v3, s0, -v14
	v_rndne_f32_e32 v28, v14
	v_fmac_f32_e32 v25, 0x32a5705f, v16
	v_sub_f32_e32 v13, v13, v26
	v_mul_f32_e32 v24, 0x3fb8aa3b, v4
	v_fma_f32 v29, v17, s0, -v23
	v_rndne_f32_e32 v30, v23
	v_fmac_f32_e32 v27, 0x32a5705f, v3
	v_sub_f32_e32 v14, v14, v28
	v_add_f32_e32 v13, v13, v25
	v_fma_f32 v31, v4, s0, -v24
	v_rndne_f32_e32 v32, v24
	v_cvt_i32_f32_e32 v26, v26
	v_fmac_f32_e32 v29, 0x32a5705f, v17
	v_sub_f32_e32 v23, v23, v30
	v_add_f32_e32 v14, v14, v27
	v_exp_f32_e32 v13, v13
	v_cvt_i32_f32_e32 v28, v28
	v_fmac_f32_e32 v31, 0x32a5705f, v4
	v_sub_f32_e32 v24, v24, v32
	v_add_f32_e32 v23, v23, v29
	v_exp_f32_e32 v14, v14
	v_cvt_i32_f32_e32 v30, v30
	v_add_f32_e32 v24, v24, v31
	v_exp_f32_e32 v23, v23
	v_cvt_i32_f32_e32 v32, v32
	v_exp_f32_e32 v24, v24
	v_ldexp_f32 v13, v13, v26
	v_cmp_ngt_f32_e32 vcc, s1, v16
	v_ldexp_f32 v14, v14, v28
	v_cndmask_b32_e32 v13, 0, v13, vcc
	v_cmp_ngt_f32_e32 vcc, s1, v3
	v_ldexp_f32 v23, v23, v30
	v_cndmask_b32_e32 v14, 0, v14, vcc
	;; [unrolled: 3-line block ×3, first 2 shown]
	v_cmp_ngt_f32_e32 vcc, s1, v4
	v_cndmask_b32_e32 v24, 0, v24, vcc
	v_cmp_nlt_f32_e32 vcc, s6, v16
	v_cndmask_b32_e32 v13, v15, v13, vcc
	v_cmp_nlt_f32_e32 vcc, s6, v3
	;; [unrolled: 2-line block ×4, first 2 shown]
	v_cndmask_b32_e32 v4, v15, v24, vcc
	v_fmac_f32_e32 v3, v1, v13
	v_cvt_f16_f32_e32 v13, v13
	v_cvt_f16_f32_e32 v15, v14
	v_fmac_f32_e32 v4, v2, v14
	v_mov_b32_e32 v1, v3
	v_mul_u32_u24_e32 v2, 0x10001, v13
	v_mul_u32_u24_e32 v13, 0x10001, v15
	v_pk_mul_f16 v53, v53, v2
	v_pk_mul_f16 v60, v60, v2
	;; [unrolled: 1-line block ×16, first 2 shown]
	v_mov_b32_e32 v2, v4
	v_cmp_gt_i32_e32 vcc, s2, v20
	s_and_saveexec_b64 s[0:1], vcc
	s_cbranch_execnz .LBB9_18
.LBB9_16:
	s_endpgm
.LBB9_17:
	v_mov_b32_e32 v4, v2
	v_mov_b32_e32 v3, v1
	v_cmp_gt_i32_e32 vcc, s2, v20
	s_and_saveexec_b64 s[0:1], vcc
	s_cbranch_execz .LBB9_16
.LBB9_18:
	s_load_dword s6, s[4:5], 0xd4
	v_mov_b32_e32 v13, 1.0
	s_waitcnt lgkmcnt(0)
	s_cmp_lg_u32 s6, 1
	s_cselect_b64 s[0:1], -1, 0
	s_cmp_eq_u32 s6, 1
	s_cselect_b64 s[4:5], -1, 0
	s_and_b64 vcc, exec, s[0:1]
	s_cbranch_vccnz .LBB9_20
; %bb.19:
	v_div_scale_f32 v13, s[8:9], v1, v1, 1.0
	v_div_scale_f32 v14, vcc, 1.0, v1, 1.0
	v_rcp_f32_e32 v15, v13
	v_fma_f32 v16, -v13, v15, 1.0
	v_fmac_f32_e32 v15, v16, v15
	v_mul_f32_e32 v16, v14, v15
	v_fma_f32 v17, -v13, v16, v14
	v_fmac_f32_e32 v16, v17, v15
	v_fma_f32 v13, -v13, v16, v14
	v_div_fmas_f32 v13, v13, v15, v16
	v_div_fixup_f32 v13, v13, v1, 1.0
.LBB9_20:
	s_mul_i32 s30, s30, s2
	v_add_u32_e32 v1, s30, v20
	v_mul_lo_u32 v1, v1, s3
	v_cmp_eq_u32_e32 vcc, 0, v0
	v_cvt_f32_f16_sdwa v14, v60 dst_sel:DWORD dst_unused:UNUSED_PAD src0_sel:WORD_1
	v_cvt_f32_f16_e32 v15, v60
	v_add3_u32 v0, s25, v21, v1
	v_mul_lo_u32 v0, s6, v0
	v_cvt_f32_f16_e32 v21, v53
	v_cvt_f32_f16_sdwa v1, v53 dst_sel:DWORD dst_unused:UNUSED_PAD src0_sel:WORD_1
	v_mul_f32_e32 v17, v13, v14
	v_add_u32_e32 v0, s7, v0
	v_lshl_add_u32 v20, v0, 9, v22
	v_mul_f32_e32 v14, v13, v21
	v_mov_b32_e32 v21, 0
	v_lshlrev_b64 v[23:24], 2, v[20:21]
	s_and_b64 s[0:1], vcc, s[0:1]
	v_mul_f32_e32 v16, v13, v15
	v_mul_f32_e32 v15, v13, v1
	v_mov_b32_e32 v1, s21
	v_add_co_u32_e32 v23, vcc, s20, v23
	v_addc_co_u32_e32 v24, vcc, v1, v24, vcc
	global_store_dwordx4 v[23:24], v[14:17], off
	v_cvt_f32_f16_e32 v23, v58
	v_cvt_f32_f16_e32 v14, v59
	v_cvt_f32_f16_sdwa v1, v59 dst_sel:DWORD dst_unused:UNUSED_PAD src0_sel:WORD_1
	v_cvt_f32_f16_sdwa v15, v58 dst_sel:DWORD dst_unused:UNUSED_PAD src0_sel:WORD_1
	v_mov_b32_e32 v24, v21
	v_mul_f32_e32 v16, v13, v14
	v_mul_f32_e32 v14, v13, v23
	v_add_u32_e32 v23, 0x80, v20
	v_lshlrev_b64 v[23:24], 2, v[23:24]
	v_mul_f32_e32 v17, v13, v1
	v_mov_b32_e32 v1, s21
	v_add_co_u32_e32 v23, vcc, s20, v23
	v_mul_f32_e32 v15, v13, v15
	v_addc_co_u32_e32 v24, vcc, v1, v24, vcc
	global_store_dwordx4 v[23:24], v[14:17], off
	v_cvt_f32_f16_e32 v23, v56
	v_cvt_f32_f16_e32 v14, v57
	v_cvt_f32_f16_sdwa v1, v57 dst_sel:DWORD dst_unused:UNUSED_PAD src0_sel:WORD_1
	v_cvt_f32_f16_sdwa v15, v56 dst_sel:DWORD dst_unused:UNUSED_PAD src0_sel:WORD_1
	v_mov_b32_e32 v24, v21
	v_mul_f32_e32 v16, v13, v14
	v_mul_f32_e32 v14, v13, v23
	v_add_u32_e32 v23, 0x100, v20
	v_lshlrev_b64 v[23:24], 2, v[23:24]
	v_mul_f32_e32 v17, v13, v1
	v_mov_b32_e32 v1, s21
	v_add_co_u32_e32 v23, vcc, s20, v23
	v_mul_f32_e32 v15, v13, v15
	v_addc_co_u32_e32 v24, vcc, v1, v24, vcc
	v_cvt_f32_f16_sdwa v1, v55 dst_sel:DWORD dst_unused:UNUSED_PAD src0_sel:WORD_1
	global_store_dwordx4 v[23:24], v[14:17], off
	v_cvt_f32_f16_e32 v23, v54
	v_cvt_f32_f16_e32 v14, v55
	v_cvt_f32_f16_sdwa v17, v54 dst_sel:DWORD dst_unused:UNUSED_PAD src0_sel:WORD_1
	v_add_u32_e32 v20, 0x180, v20
	v_lshlrev_b64 v[20:21], 2, v[20:21]
	v_mul_f32_e32 v16, v13, v1
	v_mov_b32_e32 v1, s21
	v_add_co_u32_e32 v20, vcc, s20, v20
	v_mul_f32_e32 v15, v13, v14
	v_mul_f32_e32 v14, v13, v17
	;; [unrolled: 1-line block ×3, first 2 shown]
	v_addc_co_u32_e32 v21, vcc, v1, v21, vcc
	global_store_dwordx4 v[20:21], v[13:16], off
	s_and_saveexec_b64 s[2:3], s[0:1]
	s_cbranch_execz .LBB9_22
; %bb.21:
	v_ashrrev_i32_e32 v1, 31, v0
	v_lshlrev_b64 v[13:14], 3, v[0:1]
	v_mov_b32_e32 v1, s23
	v_add_co_u32_e32 v13, vcc, s22, v13
	v_addc_co_u32_e32 v14, vcc, v1, v14, vcc
	v_mov_b32_e32 v15, v18
	v_mov_b32_e32 v16, v3
	global_store_dwordx2 v[13:14], v[15:16], off
.LBB9_22:
	s_or_b64 exec, exec, s[2:3]
	s_andn2_b64 vcc, exec, s[4:5]
	v_mov_b32_e32 v1, 1.0
	s_cbranch_vccnz .LBB9_24
; %bb.23:
	v_div_scale_f32 v1, s[2:3], v2, v2, 1.0
	v_div_scale_f32 v3, vcc, 1.0, v2, 1.0
	v_rcp_f32_e32 v13, v1
	v_fma_f32 v14, -v1, v13, 1.0
	v_fmac_f32_e32 v13, v14, v13
	v_mul_f32_e32 v14, v3, v13
	v_fma_f32 v15, -v1, v14, v3
	v_fmac_f32_e32 v14, v15, v13
	v_fma_f32 v1, -v1, v14, v3
	v_div_fmas_f32 v1, v1, v13, v14
	v_div_fixup_f32 v1, v1, v2, 1.0
.LBB9_24:
	v_cvt_f32_f16_sdwa v3, v12 dst_sel:DWORD dst_unused:UNUSED_PAD src0_sel:WORD_1
	v_add_u32_e32 v0, s6, v0
	v_cvt_f32_f16_e32 v12, v12
	v_cvt_f32_f16_sdwa v13, v6 dst_sel:DWORD dst_unused:UNUSED_PAD src0_sel:WORD_1
	v_cvt_f32_f16_e32 v6, v6
	v_lshl_add_u32 v2, v0, 9, v22
	v_mul_f32_e32 v15, v1, v3
	v_mov_b32_e32 v3, 0
	v_lshlrev_b64 v[16:17], 2, v[2:3]
	v_mul_f32_e32 v14, v1, v12
	v_mul_f32_e32 v12, v1, v6
	v_mov_b32_e32 v6, s21
	v_add_co_u32_e32 v16, vcc, s20, v16
	v_mul_f32_e32 v13, v1, v13
	v_addc_co_u32_e32 v17, vcc, v6, v17, vcc
	global_store_dwordx4 v[16:17], v[12:15], off
	v_cvt_f32_f16_sdwa v6, v11 dst_sel:DWORD dst_unused:UNUSED_PAD src0_sel:WORD_1
	v_cvt_f32_f16_e32 v11, v11
	v_cvt_f32_f16_sdwa v14, v10 dst_sel:DWORD dst_unused:UNUSED_PAD src0_sel:WORD_1
	v_cvt_f32_f16_e32 v10, v10
	v_mov_b32_e32 v15, v3
	v_mul_f32_e32 v12, v1, v11
	v_mul_f32_e32 v11, v1, v14
	v_add_u32_e32 v14, 0x80, v2
	v_lshlrev_b64 v[14:15], 2, v[14:15]
	v_mul_f32_e32 v13, v1, v6
	v_mov_b32_e32 v6, s21
	v_add_co_u32_e32 v14, vcc, s20, v14
	v_mul_f32_e32 v10, v1, v10
	v_addc_co_u32_e32 v15, vcc, v6, v15, vcc
	global_store_dwordx4 v[14:15], v[10:13], off
	v_cvt_f32_f16_sdwa v6, v9 dst_sel:DWORD dst_unused:UNUSED_PAD src0_sel:WORD_1
	v_cvt_f32_f16_e32 v9, v9
	v_cvt_f32_f16_sdwa v12, v8 dst_sel:DWORD dst_unused:UNUSED_PAD src0_sel:WORD_1
	v_cvt_f32_f16_e32 v8, v8
	v_mov_b32_e32 v13, v3
	v_mul_f32_e32 v10, v1, v9
	v_mul_f32_e32 v9, v1, v12
	v_add_u32_e32 v12, 0x100, v2
	v_lshlrev_b64 v[12:13], 2, v[12:13]
	v_mul_f32_e32 v11, v1, v6
	v_mov_b32_e32 v6, s21
	v_add_co_u32_e32 v12, vcc, s20, v12
	v_mul_f32_e32 v8, v1, v8
	v_addc_co_u32_e32 v13, vcc, v6, v13, vcc
	global_store_dwordx4 v[12:13], v[8:11], off
	v_cvt_f32_f16_sdwa v6, v5 dst_sel:DWORD dst_unused:UNUSED_PAD src0_sel:WORD_1
	v_cvt_f32_f16_e32 v5, v5
	v_cvt_f32_f16_sdwa v9, v7 dst_sel:DWORD dst_unused:UNUSED_PAD src0_sel:WORD_1
	v_cvt_f32_f16_e32 v10, v7
	v_add_u32_e32 v2, 0x180, v2
	v_mul_f32_e32 v8, v1, v6
	v_mul_f32_e32 v7, v1, v5
	v_mul_f32_e32 v6, v1, v9
	v_mul_f32_e32 v5, v1, v10
	v_lshlrev_b64 v[1:2], 2, v[2:3]
	v_mov_b32_e32 v3, s21
	v_add_co_u32_e32 v1, vcc, s20, v1
	v_addc_co_u32_e32 v2, vcc, v3, v2, vcc
	global_store_dwordx4 v[1:2], v[5:8], off
	s_and_b64 exec, exec, s[0:1]
	s_cbranch_execz .LBB9_16
; %bb.25:
	v_ashrrev_i32_e32 v1, 31, v0
	v_lshlrev_b64 v[0:1], 3, v[0:1]
	v_mov_b32_e32 v2, s23
	v_add_co_u32_e32 v0, vcc, s22, v0
	v_addc_co_u32_e32 v1, vcc, v2, v1, vcc
	v_mov_b32_e32 v3, v19
	global_store_dwordx2 v[0:1], v[3:4], off
	s_endpgm
	.section	.rodata,"a",@progbits
	.p2align	6, 0x0
	.amdhsa_kernel _ZL15flash_attn_tileILi576ELi512ELi8ELi4ELb0EEvPKcS1_S1_S1_S1_PKiPfP15HIP_vector_typeIfLj2EEffffjfiS5_IjLj3EEiiiiiiiiiiiliiliiiiil
		.amdhsa_group_segment_fixed_size 63488
		.amdhsa_private_segment_fixed_size 0
		.amdhsa_kernarg_size 464
		.amdhsa_user_sgpr_count 6
		.amdhsa_user_sgpr_private_segment_buffer 1
		.amdhsa_user_sgpr_dispatch_ptr 0
		.amdhsa_user_sgpr_queue_ptr 0
		.amdhsa_user_sgpr_kernarg_segment_ptr 1
		.amdhsa_user_sgpr_dispatch_id 0
		.amdhsa_user_sgpr_flat_scratch_init 0
		.amdhsa_user_sgpr_private_segment_size 0
		.amdhsa_uses_dynamic_stack 0
		.amdhsa_system_sgpr_private_segment_wavefront_offset 0
		.amdhsa_system_sgpr_workgroup_id_x 1
		.amdhsa_system_sgpr_workgroup_id_y 1
		.amdhsa_system_sgpr_workgroup_id_z 1
		.amdhsa_system_sgpr_workgroup_info 0
		.amdhsa_system_vgpr_workitem_id 1
		.amdhsa_next_free_vgpr 93
		.amdhsa_next_free_sgpr 98
		.amdhsa_reserve_vcc 1
		.amdhsa_reserve_flat_scratch 0
		.amdhsa_float_round_mode_32 0
		.amdhsa_float_round_mode_16_64 0
		.amdhsa_float_denorm_mode_32 3
		.amdhsa_float_denorm_mode_16_64 3
		.amdhsa_dx10_clamp 1
		.amdhsa_ieee_mode 1
		.amdhsa_fp16_overflow 0
		.amdhsa_exception_fp_ieee_invalid_op 0
		.amdhsa_exception_fp_denorm_src 0
		.amdhsa_exception_fp_ieee_div_zero 0
		.amdhsa_exception_fp_ieee_overflow 0
		.amdhsa_exception_fp_ieee_underflow 0
		.amdhsa_exception_fp_ieee_inexact 0
		.amdhsa_exception_int_div_zero 0
	.end_amdhsa_kernel
	.section	.text._ZL15flash_attn_tileILi576ELi512ELi8ELi4ELb0EEvPKcS1_S1_S1_S1_PKiPfP15HIP_vector_typeIfLj2EEffffjfiS5_IjLj3EEiiiiiiiiiiiliiliiiiil,"axG",@progbits,_ZL15flash_attn_tileILi576ELi512ELi8ELi4ELb0EEvPKcS1_S1_S1_S1_PKiPfP15HIP_vector_typeIfLj2EEffffjfiS5_IjLj3EEiiiiiiiiiiiliiliiiiil,comdat
.Lfunc_end9:
	.size	_ZL15flash_attn_tileILi576ELi512ELi8ELi4ELb0EEvPKcS1_S1_S1_S1_PKiPfP15HIP_vector_typeIfLj2EEffffjfiS5_IjLj3EEiiiiiiiiiiiliiliiiiil, .Lfunc_end9-_ZL15flash_attn_tileILi576ELi512ELi8ELi4ELb0EEvPKcS1_S1_S1_S1_PKiPfP15HIP_vector_typeIfLj2EEffffjfiS5_IjLj3EEiiiiiiiiiiiliiliiiiil
                                        ; -- End function
	.set _ZL15flash_attn_tileILi576ELi512ELi8ELi4ELb0EEvPKcS1_S1_S1_S1_PKiPfP15HIP_vector_typeIfLj2EEffffjfiS5_IjLj3EEiiiiiiiiiiiliiliiiiil.num_vgpr, 93
	.set _ZL15flash_attn_tileILi576ELi512ELi8ELi4ELb0EEvPKcS1_S1_S1_S1_PKiPfP15HIP_vector_typeIfLj2EEffffjfiS5_IjLj3EEiiiiiiiiiiiliiliiiiil.num_agpr, 0
	.set _ZL15flash_attn_tileILi576ELi512ELi8ELi4ELb0EEvPKcS1_S1_S1_S1_PKiPfP15HIP_vector_typeIfLj2EEffffjfiS5_IjLj3EEiiiiiiiiiiiliiliiiiil.numbered_sgpr, 40
	.set _ZL15flash_attn_tileILi576ELi512ELi8ELi4ELb0EEvPKcS1_S1_S1_S1_PKiPfP15HIP_vector_typeIfLj2EEffffjfiS5_IjLj3EEiiiiiiiiiiiliiliiiiil.num_named_barrier, 0
	.set _ZL15flash_attn_tileILi576ELi512ELi8ELi4ELb0EEvPKcS1_S1_S1_S1_PKiPfP15HIP_vector_typeIfLj2EEffffjfiS5_IjLj3EEiiiiiiiiiiiliiliiiiil.private_seg_size, 0
	.set _ZL15flash_attn_tileILi576ELi512ELi8ELi4ELb0EEvPKcS1_S1_S1_S1_PKiPfP15HIP_vector_typeIfLj2EEffffjfiS5_IjLj3EEiiiiiiiiiiiliiliiiiil.uses_vcc, 1
	.set _ZL15flash_attn_tileILi576ELi512ELi8ELi4ELb0EEvPKcS1_S1_S1_S1_PKiPfP15HIP_vector_typeIfLj2EEffffjfiS5_IjLj3EEiiiiiiiiiiiliiliiiiil.uses_flat_scratch, 0
	.set _ZL15flash_attn_tileILi576ELi512ELi8ELi4ELb0EEvPKcS1_S1_S1_S1_PKiPfP15HIP_vector_typeIfLj2EEffffjfiS5_IjLj3EEiiiiiiiiiiiliiliiiiil.has_dyn_sized_stack, 0
	.set _ZL15flash_attn_tileILi576ELi512ELi8ELi4ELb0EEvPKcS1_S1_S1_S1_PKiPfP15HIP_vector_typeIfLj2EEffffjfiS5_IjLj3EEiiiiiiiiiiiliiliiiiil.has_recursion, 0
	.set _ZL15flash_attn_tileILi576ELi512ELi8ELi4ELb0EEvPKcS1_S1_S1_S1_PKiPfP15HIP_vector_typeIfLj2EEffffjfiS5_IjLj3EEiiiiiiiiiiiliiliiiiil.has_indirect_call, 0
	.section	.AMDGPU.csdata,"",@progbits
; Kernel info:
; codeLenInByte = 51340
; TotalNumSgprs: 44
; NumVgprs: 93
; ScratchSize: 0
; MemoryBound: 0
; FloatMode: 240
; IeeeMode: 1
; LDSByteSize: 63488 bytes/workgroup (compile time only)
; SGPRBlocks: 12
; VGPRBlocks: 23
; NumSGPRsForWavesPerEU: 102
; NumVGPRsForWavesPerEU: 93
; Occupancy: 2
; WaveLimiterHint : 1
; COMPUTE_PGM_RSRC2:SCRATCH_EN: 0
; COMPUTE_PGM_RSRC2:USER_SGPR: 6
; COMPUTE_PGM_RSRC2:TRAP_HANDLER: 0
; COMPUTE_PGM_RSRC2:TGID_X_EN: 1
; COMPUTE_PGM_RSRC2:TGID_Y_EN: 1
; COMPUTE_PGM_RSRC2:TGID_Z_EN: 1
; COMPUTE_PGM_RSRC2:TIDIG_COMP_CNT: 1
	.section	.text._ZL25flash_attn_mask_to_KV_maxILi8EEvPK7__half2Piiii,"axG",@progbits,_ZL25flash_attn_mask_to_KV_maxILi8EEvPK7__half2Piiii,comdat
	.globl	_ZL25flash_attn_mask_to_KV_maxILi8EEvPK7__half2Piiii ; -- Begin function _ZL25flash_attn_mask_to_KV_maxILi8EEvPK7__half2Piiii
	.p2align	8
	.type	_ZL25flash_attn_mask_to_KV_maxILi8EEvPK7__half2Piiii,@function
_ZL25flash_attn_mask_to_KV_maxILi8EEvPK7__half2Piiii: ; @_ZL25flash_attn_mask_to_KV_maxILi8EEvPK7__half2Piiii
; %bb.0:
	s_load_dwordx4 s[8:11], s[4:5], 0x0
	v_cmp_gt_u32_e32 vcc, 32, v0
	s_and_saveexec_b64 s[0:1], vcc
; %bb.1:
	v_lshlrev_b32_e32 v1, 2, v0
	v_mov_b32_e32 v2, 1
	ds_write_b32 v1, v2
; %bb.2:
	s_or_b64 exec, exec, s[0:1]
	s_load_dwordx4 s[12:15], s[4:5], 0x10
	s_load_dword s33, s[4:5], 0x20
	v_and_b32_e32 v1, 31, v0
	v_lshlrev_b32_e32 v6, 2, v1
	v_lshrrev_b32_e32 v5, 3, v0
	s_waitcnt lgkmcnt(0)
	s_mul_i32 s1, s6, s13
	s_mul_i32 s0, s14, s7
	s_lshl_b32 s1, s1, 3
	s_add_i32 s0, s0, s1
	s_ashr_i32 s1, s0, 31
	s_lshl_b64 s[0:1], s[0:1], 2
	s_add_u32 s40, s8, s0
	s_addc_u32 s41, s9, s1
	v_cmp_eq_u32_e64 s[0:1], 0, v1
	v_mbcnt_lo_u32_b32 v1, -1, 0
	s_lshl_b32 s12, s12, 8
	s_mov_b64 s[4:5], 0
	v_mov_b32_e32 v2, 0
	s_movk_i32 s42, 0x204
	v_mbcnt_hi_u32_b32 v7, -1, v1
	s_barrier
                                        ; implicit-def: $sgpr2_sgpr3
	s_branch .LBB10_5
.LBB10_3:                               ;   in Loop: Header=BB10_5 Depth=1
	s_or_b64 exec, exec, s[8:9]
	s_waitcnt lgkmcnt(0)
	s_barrier
	ds_read_b32 v10, v6
	s_waitcnt lgkmcnt(0)
	s_barrier
	ds_bpermute_b32 v1, v1, v10
	v_cmp_ne_u32_e32 vcc, 0, v10
	s_waitcnt lgkmcnt(0)
	v_cmp_ne_u32_e64 s[2:3], 0, v1
	s_and_b64 s[2:3], vcc, s[2:3]
	v_cndmask_b32_e64 v1, 0, 1, s[2:3]
	ds_bpermute_b32 v1, v3, v1
	s_waitcnt lgkmcnt(0)
	v_cmp_ne_u32_e32 vcc, 0, v1
	s_and_b64 s[2:3], vcc, s[2:3]
	v_cndmask_b32_e64 v1, 0, 1, s[2:3]
	ds_bpermute_b32 v1, v4, v1
	s_waitcnt lgkmcnt(0)
	v_cmp_ne_u32_e32 vcc, 0, v1
	;; [unrolled: 5-line block ×3, first 2 shown]
	s_and_b64 s[2:3], vcc, s[2:3]
	v_cndmask_b32_e64 v1, 0, 1, s[2:3]
	ds_bpermute_b32 v1, v9, v1
	s_xor_b64 s[2:3], s[2:3], -1
	s_waitcnt lgkmcnt(0)
	v_cmp_eq_u32_e32 vcc, 0, v1
	s_or_b64 s[2:3], vcc, s[2:3]
.LBB10_4:                               ;   in Loop: Header=BB10_5 Depth=1
	s_and_b64 s[8:9], exec, s[2:3]
	s_or_b64 s[4:5], s[8:9], s[4:5]
	v_mov_b32_e32 v1, s12
	s_mov_b32 s12, s43
	s_andn2_b64 exec, exec, s[4:5]
	s_cbranch_execz .LBB10_36
.LBB10_5:                               ; =>This Inner Loop Header: Depth=1
	s_add_i32 s43, s12, 0xffffff00
	s_or_b64 s[2:3], s[2:3], exec
	s_cmp_lt_i32 s43, 0
	s_cbranch_scc1 .LBB10_4
; %bb.6:                                ;   in Loop: Header=BB10_5 Depth=1
	s_lshr_b32 s2, s43, 1
	v_add_u32_e32 v1, s2, v0
	v_lshlrev_b64 v[3:4], 2, v[1:2]
	v_mov_b32_e32 v8, s41
	v_add_co_u32_e32 v3, vcc, s40, v3
	v_addc_co_u32_e32 v4, vcc, v8, v4, vcc
	global_load_dword v3, v[3:4], off
	v_mov_b32_e32 v4, 0
	s_waitcnt vmcnt(0)
	v_cmp_class_f16_e64 s[2:3], v3, s42
	v_cmp_class_f16_sdwa s[8:9], v3, s42 src0_sel:WORD_1 src1_sel:DWORD
	s_and_b64 s[8:9], s[2:3], s[8:9]
	s_and_saveexec_b64 s[2:3], s[8:9]
	s_cbranch_execz .LBB10_34
; %bb.7:                                ;   in Loop: Header=BB10_5 Depth=1
	v_add_u32_e32 v3, s13, v1
	v_ashrrev_i32_e32 v4, 31, v3
	v_lshlrev_b64 v[8:9], 2, v[3:4]
	v_mov_b32_e32 v1, s41
	v_add_co_u32_e32 v8, vcc, s40, v8
	v_addc_co_u32_e32 v9, vcc, v1, v9, vcc
	global_load_dword v1, v[8:9], off
	v_mov_b32_e32 v4, 0
	s_waitcnt vmcnt(0)
	v_cmp_class_f16_e64 s[14:15], v1, s42
	s_and_saveexec_b64 s[8:9], s[14:15]
	s_cbranch_execz .LBB10_33
; %bb.8:                                ;   in Loop: Header=BB10_5 Depth=1
	v_cmp_class_f16_sdwa s[16:17], v1, s42 src0_sel:WORD_1 src1_sel:DWORD
	v_mov_b32_e32 v4, 0
	s_and_saveexec_b64 s[14:15], s[16:17]
	s_cbranch_execz .LBB10_32
; %bb.9:                                ;   in Loop: Header=BB10_5 Depth=1
	v_add_u32_e32 v3, s13, v3
	v_ashrrev_i32_e32 v4, 31, v3
	v_lshlrev_b64 v[8:9], 2, v[3:4]
	v_mov_b32_e32 v1, s41
	v_add_co_u32_e32 v8, vcc, s40, v8
	v_addc_co_u32_e32 v9, vcc, v1, v9, vcc
	global_load_dword v1, v[8:9], off
	v_mov_b32_e32 v4, 0
	s_waitcnt vmcnt(0)
	v_cmp_class_f16_e64 s[18:19], v1, s42
	s_and_saveexec_b64 s[16:17], s[18:19]
	s_cbranch_execz .LBB10_31
; %bb.10:                               ;   in Loop: Header=BB10_5 Depth=1
	v_cmp_class_f16_sdwa s[20:21], v1, s42 src0_sel:WORD_1 src1_sel:DWORD
	v_mov_b32_e32 v4, 0
	s_and_saveexec_b64 s[18:19], s[20:21]
	s_cbranch_execz .LBB10_30
; %bb.11:                               ;   in Loop: Header=BB10_5 Depth=1
	v_add_u32_e32 v3, s13, v3
	v_ashrrev_i32_e32 v4, 31, v3
	v_lshlrev_b64 v[8:9], 2, v[3:4]
	v_mov_b32_e32 v1, s41
	v_add_co_u32_e32 v8, vcc, s40, v8
	v_addc_co_u32_e32 v9, vcc, v1, v9, vcc
	global_load_dword v1, v[8:9], off
	v_mov_b32_e32 v4, 0
	s_waitcnt vmcnt(0)
	v_cmp_class_f16_e64 s[22:23], v1, s42
	s_and_saveexec_b64 s[20:21], s[22:23]
	s_cbranch_execz .LBB10_29
; %bb.12:                               ;   in Loop: Header=BB10_5 Depth=1
	v_cmp_class_f16_sdwa s[24:25], v1, s42 src0_sel:WORD_1 src1_sel:DWORD
	v_mov_b32_e32 v4, 0
	s_and_saveexec_b64 s[22:23], s[24:25]
	s_cbranch_execz .LBB10_28
; %bb.13:                               ;   in Loop: Header=BB10_5 Depth=1
	;; [unrolled: 18-line block ×5, first 2 shown]
	v_add_u32_e32 v3, s13, v3
	v_ashrrev_i32_e32 v4, 31, v3
	v_lshlrev_b64 v[3:4], 2, v[3:4]
	v_mov_b32_e32 v1, s41
	v_add_co_u32_e32 v3, vcc, s40, v3
	v_addc_co_u32_e32 v4, vcc, v1, v4, vcc
	global_load_dword v1, v[3:4], off
	v_mov_b32_e32 v4, 0
	s_waitcnt vmcnt(0)
	v_cmp_class_f16_e64 s[44:45], v1, s42
	s_and_saveexec_b64 s[38:39], s[44:45]
; %bb.20:                               ;   in Loop: Header=BB10_5 Depth=1
	v_cmp_class_f16_sdwa s[44:45], v1, s42 src0_sel:WORD_1 src1_sel:DWORD
	v_cndmask_b32_e64 v4, 0, 1, s[44:45]
; %bb.21:                               ;   in Loop: Header=BB10_5 Depth=1
	s_or_b64 exec, exec, s[38:39]
.LBB10_22:                              ;   in Loop: Header=BB10_5 Depth=1
	s_or_b64 exec, exec, s[36:37]
.LBB10_23:                              ;   in Loop: Header=BB10_5 Depth=1
	s_or_b64 exec, exec, s[34:35]
.LBB10_24:                              ;   in Loop: Header=BB10_5 Depth=1
	s_or_b64 exec, exec, s[30:31]
.LBB10_25:                              ;   in Loop: Header=BB10_5 Depth=1
	s_or_b64 exec, exec, s[28:29]
.LBB10_26:                              ;   in Loop: Header=BB10_5 Depth=1
	s_or_b64 exec, exec, s[26:27]
.LBB10_27:                              ;   in Loop: Header=BB10_5 Depth=1
	s_or_b64 exec, exec, s[24:25]
.LBB10_28:                              ;   in Loop: Header=BB10_5 Depth=1
	s_or_b64 exec, exec, s[22:23]
.LBB10_29:                              ;   in Loop: Header=BB10_5 Depth=1
	s_or_b64 exec, exec, s[20:21]
.LBB10_30:                              ;   in Loop: Header=BB10_5 Depth=1
	s_or_b64 exec, exec, s[18:19]
.LBB10_31:                              ;   in Loop: Header=BB10_5 Depth=1
	s_or_b64 exec, exec, s[16:17]
.LBB10_32:                              ;   in Loop: Header=BB10_5 Depth=1
	s_or_b64 exec, exec, s[14:15]
.LBB10_33:                              ;   in Loop: Header=BB10_5 Depth=1
	s_or_b64 exec, exec, s[8:9]
.LBB10_34:                              ;   in Loop: Header=BB10_5 Depth=1
	s_or_b64 exec, exec, s[2:3]
	v_and_b32_e32 v1, 0x60, v7
	v_add_u32_e32 v9, 32, v1
	v_xor_b32_e32 v1, 16, v7
	v_cmp_lt_i32_e32 vcc, v1, v9
	v_cndmask_b32_e32 v1, v7, v1, vcc
	v_lshlrev_b32_e32 v1, 2, v1
	ds_bpermute_b32 v3, v1, v4
	v_cmp_ne_u32_e32 vcc, 0, v4
	v_xor_b32_e32 v11, 1, v7
	s_waitcnt lgkmcnt(0)
	v_cmp_ne_u32_e64 s[2:3], 0, v3
	v_xor_b32_e32 v3, 8, v7
	s_and_b64 s[2:3], vcc, s[2:3]
	v_cmp_lt_i32_e32 vcc, v3, v9
	v_cndmask_b32_e32 v3, v7, v3, vcc
	v_cndmask_b32_e64 v4, 0, 1, s[2:3]
	v_lshlrev_b32_e32 v3, 2, v3
	ds_bpermute_b32 v4, v3, v4
	s_waitcnt lgkmcnt(0)
	v_cmp_ne_u32_e32 vcc, 0, v4
	v_xor_b32_e32 v4, 4, v7
	s_and_b64 s[2:3], vcc, s[2:3]
	v_cmp_lt_i32_e32 vcc, v4, v9
	v_cndmask_b32_e32 v4, v7, v4, vcc
	v_cndmask_b32_e64 v8, 0, 1, s[2:3]
	v_lshlrev_b32_e32 v4, 2, v4
	ds_bpermute_b32 v8, v4, v8
	s_waitcnt lgkmcnt(0)
	v_cmp_ne_u32_e32 vcc, 0, v8
	;; [unrolled: 9-line block ×3, first 2 shown]
	s_and_b64 s[2:3], vcc, s[2:3]
	v_cmp_lt_i32_e32 vcc, v11, v9
	v_cndmask_b32_e32 v9, v7, v11, vcc
	v_cndmask_b32_e64 v10, 0, 1, s[2:3]
	v_lshlrev_b32_e32 v9, 2, v9
	ds_bpermute_b32 v10, v9, v10
	s_and_saveexec_b64 s[8:9], s[0:1]
	s_cbranch_execz .LBB10_3
; %bb.35:                               ;   in Loop: Header=BB10_5 Depth=1
	s_waitcnt lgkmcnt(0)
	v_cmp_ne_u32_e32 vcc, 0, v10
	s_and_b64 s[2:3], vcc, s[2:3]
	v_cndmask_b32_e64 v10, 0, 1, s[2:3]
	ds_write_b32 v5, v10
	s_branch .LBB10_3
.LBB10_36:
	s_or_b64 exec, exec, s[4:5]
	v_cmp_eq_u32_e32 vcc, 0, v0
	s_and_saveexec_b64 s[0:1], vcc
	s_cbranch_execz .LBB10_38
; %bb.37:
	s_mul_i32 s0, s33, s7
	s_add_i32 s0, s0, s6
	s_ashr_i32 s1, s0, 31
	s_lshl_b64 s[0:1], s[0:1], 2
	s_add_u32 s0, s10, s0
	s_addc_u32 s1, s11, s1
	v_mov_b32_e32 v0, 0
	global_store_dword v0, v1, s[0:1]
.LBB10_38:
	s_endpgm
	.section	.rodata,"a",@progbits
	.p2align	6, 0x0
	.amdhsa_kernel _ZL25flash_attn_mask_to_KV_maxILi8EEvPK7__half2Piiii
		.amdhsa_group_segment_fixed_size 128
		.amdhsa_private_segment_fixed_size 0
		.amdhsa_kernarg_size 288
		.amdhsa_user_sgpr_count 6
		.amdhsa_user_sgpr_private_segment_buffer 1
		.amdhsa_user_sgpr_dispatch_ptr 0
		.amdhsa_user_sgpr_queue_ptr 0
		.amdhsa_user_sgpr_kernarg_segment_ptr 1
		.amdhsa_user_sgpr_dispatch_id 0
		.amdhsa_user_sgpr_flat_scratch_init 0
		.amdhsa_user_sgpr_private_segment_size 0
		.amdhsa_uses_dynamic_stack 0
		.amdhsa_system_sgpr_private_segment_wavefront_offset 0
		.amdhsa_system_sgpr_workgroup_id_x 1
		.amdhsa_system_sgpr_workgroup_id_y 1
		.amdhsa_system_sgpr_workgroup_id_z 0
		.amdhsa_system_sgpr_workgroup_info 0
		.amdhsa_system_vgpr_workitem_id 0
		.amdhsa_next_free_vgpr 12
		.amdhsa_next_free_sgpr 46
		.amdhsa_reserve_vcc 1
		.amdhsa_reserve_flat_scratch 0
		.amdhsa_float_round_mode_32 0
		.amdhsa_float_round_mode_16_64 0
		.amdhsa_float_denorm_mode_32 3
		.amdhsa_float_denorm_mode_16_64 3
		.amdhsa_dx10_clamp 1
		.amdhsa_ieee_mode 1
		.amdhsa_fp16_overflow 0
		.amdhsa_exception_fp_ieee_invalid_op 0
		.amdhsa_exception_fp_denorm_src 0
		.amdhsa_exception_fp_ieee_div_zero 0
		.amdhsa_exception_fp_ieee_overflow 0
		.amdhsa_exception_fp_ieee_underflow 0
		.amdhsa_exception_fp_ieee_inexact 0
		.amdhsa_exception_int_div_zero 0
	.end_amdhsa_kernel
	.section	.text._ZL25flash_attn_mask_to_KV_maxILi8EEvPK7__half2Piiii,"axG",@progbits,_ZL25flash_attn_mask_to_KV_maxILi8EEvPK7__half2Piiii,comdat
.Lfunc_end10:
	.size	_ZL25flash_attn_mask_to_KV_maxILi8EEvPK7__half2Piiii, .Lfunc_end10-_ZL25flash_attn_mask_to_KV_maxILi8EEvPK7__half2Piiii
                                        ; -- End function
	.set _ZL25flash_attn_mask_to_KV_maxILi8EEvPK7__half2Piiii.num_vgpr, 12
	.set _ZL25flash_attn_mask_to_KV_maxILi8EEvPK7__half2Piiii.num_agpr, 0
	.set _ZL25flash_attn_mask_to_KV_maxILi8EEvPK7__half2Piiii.numbered_sgpr, 46
	.set _ZL25flash_attn_mask_to_KV_maxILi8EEvPK7__half2Piiii.num_named_barrier, 0
	.set _ZL25flash_attn_mask_to_KV_maxILi8EEvPK7__half2Piiii.private_seg_size, 0
	.set _ZL25flash_attn_mask_to_KV_maxILi8EEvPK7__half2Piiii.uses_vcc, 1
	.set _ZL25flash_attn_mask_to_KV_maxILi8EEvPK7__half2Piiii.uses_flat_scratch, 0
	.set _ZL25flash_attn_mask_to_KV_maxILi8EEvPK7__half2Piiii.has_dyn_sized_stack, 0
	.set _ZL25flash_attn_mask_to_KV_maxILi8EEvPK7__half2Piiii.has_recursion, 0
	.set _ZL25flash_attn_mask_to_KV_maxILi8EEvPK7__half2Piiii.has_indirect_call, 0
	.section	.AMDGPU.csdata,"",@progbits
; Kernel info:
; codeLenInByte = 1360
; TotalNumSgprs: 50
; NumVgprs: 12
; ScratchSize: 0
; MemoryBound: 0
; FloatMode: 240
; IeeeMode: 1
; LDSByteSize: 128 bytes/workgroup (compile time only)
; SGPRBlocks: 6
; VGPRBlocks: 2
; NumSGPRsForWavesPerEU: 50
; NumVGPRsForWavesPerEU: 12
; Occupancy: 10
; WaveLimiterHint : 0
; COMPUTE_PGM_RSRC2:SCRATCH_EN: 0
; COMPUTE_PGM_RSRC2:USER_SGPR: 6
; COMPUTE_PGM_RSRC2:TRAP_HANDLER: 0
; COMPUTE_PGM_RSRC2:TGID_X_EN: 1
; COMPUTE_PGM_RSRC2:TGID_Y_EN: 1
; COMPUTE_PGM_RSRC2:TGID_Z_EN: 0
; COMPUTE_PGM_RSRC2:TIDIG_COMP_CNT: 0
	.section	.text._ZL33flash_attn_stream_k_fixup_uniformILi512ELi8ELi4EEvPfPK15HIP_vector_typeIfLj2EEiiiiiiS1_IjLj3EES5_S5_,"axG",@progbits,_ZL33flash_attn_stream_k_fixup_uniformILi512ELi8ELi4EEvPfPK15HIP_vector_typeIfLj2EEiiiiiiS1_IjLj3EES5_S5_,comdat
	.globl	_ZL33flash_attn_stream_k_fixup_uniformILi512ELi8ELi4EEvPfPK15HIP_vector_typeIfLj2EEiiiiiiS1_IjLj3EES5_S5_ ; -- Begin function _ZL33flash_attn_stream_k_fixup_uniformILi512ELi8ELi4EEvPfPK15HIP_vector_typeIfLj2EEiiiiiiS1_IjLj3EES5_S5_
	.p2align	8
	.type	_ZL33flash_attn_stream_k_fixup_uniformILi512ELi8ELi4EEvPfPK15HIP_vector_typeIfLj2EEiiiiiiS1_IjLj3EES5_S5_,@function
_ZL33flash_attn_stream_k_fixup_uniformILi512ELi8ELi4EEvPfPK15HIP_vector_typeIfLj2EEiiiiiiS1_IjLj3EES5_S5_: ; @_ZL33flash_attn_stream_k_fixup_uniformILi512ELi8ELi4EEvPfPK15HIP_vector_typeIfLj2EEiiiiiiS1_IjLj3EES5_S5_
; %bb.0:
	s_load_dwordx8 s[12:19], s[4:5], 0x1c
	s_load_dwordx2 s[10:11], s[4:5], 0x10
	s_load_dwordx4 s[0:3], s[4:5], 0x3c
	s_waitcnt lgkmcnt(0)
	s_mul_hi_u32 s9, s15, s6
	s_add_i32 s9, s6, s9
	s_lshr_b32 s9, s9, s16
	s_mul_i32 s15, s9, s17
	s_sub_i32 s15, s6, s15
	s_mul_hi_u32 s16, s15, s18
	s_add_i32 s16, s15, s16
	s_lshr_b32 s16, s16, s19
	s_mul_i32 s0, s16, s0
	s_sub_i32 s0, s15, s0
	;; [unrolled: 5-line block ×3, first 2 shown]
	s_lshl_b32 s0, s17, 3
	s_lshl_b32 s15, s1, 2
	s_add_i32 s0, s0, s7
	s_cmp_lt_i32 s0, s10
	s_cselect_b64 s[0:1], -1, 0
	s_add_i32 s2, s15, s8
	s_cmp_lt_i32 s2, s13
	s_cselect_b64 s[2:3], -1, 0
	s_and_b64 s[0:1], s[0:1], s[2:3]
	s_andn2_b64 vcc, exec, s[0:1]
	s_cbranch_vccnz .LBB11_6
; %bb.1:
	s_load_dwordx4 s[0:3], s[4:5], 0x0
	s_mul_i32 s4, s9, s10
	s_add_i32 s4, s4, s7
	s_mul_i32 s4, s4, s11
	s_mul_i32 s16, s16, s13
	s_add_i32 s4, s4, s8
	s_add_i32 s4, s4, s16
	s_mul_i32 s5, s11, s17
	s_add_i32 s4, s4, s15
	s_lshl_b32 s5, s5, 12
	s_lshl_b32 s4, s4, 9
	s_add_i32 s5, s5, s4
	v_or_b32_e32 v1, s5, v0
	v_ashrrev_i32_e32 v2, 31, v1
	v_lshlrev_b64 v[1:2], 2, v[1:2]
	s_waitcnt lgkmcnt(0)
	v_mov_b32_e32 v3, s1
	v_add_co_u32_e32 v1, vcc, s0, v1
	v_addc_co_u32_e32 v2, vcc, v3, v2, vcc
	global_load_dword v8, v[1:2], off
	s_mul_i32 s9, s14, s6
	s_lshl_b32 s4, s7, 2
	s_add_i32 s11, s9, s14
	s_add_i32 s0, s4, s8
	s_lshl_b32 s1, s11, 5
	s_add_i32 s0, s0, s1
	s_sub_i32 s0, s0, 32
	s_ashr_i32 s1, s0, 31
	s_lshl_b64 s[0:1], s[0:1], 3
	s_add_u32 s0, s2, s0
	s_addc_u32 s1, s3, s1
	s_load_dword s5, s[0:1], 0x4
	s_add_i32 s10, s11, -2
	s_cmp_lt_i32 s10, s9
	s_cbranch_scc1 .LBB11_4
; %bb.2:
	s_lshl_b32 s16, s12, 7
	s_ashr_i32 s17, s16, 31
	s_lshl_b64 s[16:17], s[16:17], 2
	s_add_u32 s10, s2, s16
	s_addc_u32 s13, s3, s17
	s_add_i32 s6, s6, 1
	s_load_dword s0, s[0:1], 0x0
	s_mul_i32 s1, s14, s6
	s_lshl_b32 s7, s7, 11
	s_lshl_b32 s14, s8, 9
	s_lshl_b32 s6, s1, 14
	s_add_i32 s7, s14, s7
	s_lshl_b32 s1, s1, 5
	s_add_i32 s7, s7, s6
	s_add_i32 s1, s8, s1
	s_lshl_b32 s6, s12, 5
	s_add_i32 s1, s1, s6
	v_or_b32_e32 v0, s7, v0
	s_add_i32 s1, s1, s4
	s_add_i32 s11, s11, -1
	v_add_u32_e32 v3, 0xffff8000, v0
	s_sub_i32 s4, s1, 64
	s_waitcnt lgkmcnt(0)
	v_mov_b32_e32 v7, s5
	v_mov_b32_e32 v6, s0
	;; [unrolled: 1-line block ×3, first 2 shown]
	s_mov_b32 s6, 0x3fb8aa3b
	s_mov_b32 s7, 0xc2ce8ed0
	;; [unrolled: 1-line block ×3, first 2 shown]
	v_mov_b32_e32 v5, 0x7f800000
	s_mov_b32 s12, 0xc1a00000
.LBB11_3:                               ; =>This Inner Loop Header: Depth=1
	v_ashrrev_i32_e32 v4, 31, v3
	v_lshlrev_b64 v[9:10], 2, v[3:4]
	s_ashr_i32 s5, s4, 31
	v_add_co_u32_e32 v9, vcc, s10, v9
	v_addc_co_u32_e32 v10, vcc, v0, v10, vcc
	global_load_dword v4, v[9:10], off
	s_lshl_b64 s[0:1], s[4:5], 3
	s_add_u32 s0, s2, s0
	s_addc_u32 s1, s3, s1
	s_load_dwordx2 s[14:15], s[0:1], 0x0
	s_waitcnt vmcnt(1)
	v_mov_b32_e32 v9, v8
	v_max_f32_e32 v8, v6, v6
	v_mov_b32_e32 v10, v7
	s_add_i32 s11, s11, -1
	s_waitcnt lgkmcnt(0)
	v_max_f32_e64 v7, s14, s14
	v_max_f32_e32 v7, v8, v7
	v_sub_f32_e32 v11, s14, v7
	v_sub_f32_e32 v8, v6, v7
	v_mul_f32_e32 v12, 0x3fb8aa3b, v11
	v_mov_b32_e32 v6, v7
	v_mul_f32_e32 v7, 0x3fb8aa3b, v8
	v_fma_f32 v15, v11, s6, -v12
	v_rndne_f32_e32 v16, v12
	v_fma_f32 v13, v8, s6, -v7
	v_rndne_f32_e32 v14, v7
	v_fmac_f32_e32 v15, 0x32a5705f, v11
	v_sub_f32_e32 v12, v12, v16
	v_fmac_f32_e32 v13, 0x32a5705f, v8
	v_sub_f32_e32 v7, v7, v14
	v_add_f32_e32 v12, v12, v15
	v_cvt_i32_f32_e32 v16, v16
	v_add_f32_e32 v7, v7, v13
	v_exp_f32_e32 v12, v12
	v_cvt_i32_f32_e32 v14, v14
	v_exp_f32_e32 v7, v7
	v_cmp_ngt_f32_e32 vcc, s7, v11
	v_ldexp_f32 v12, v12, v16
	v_cmp_ngt_f32_e64 s[0:1], s7, v8
	v_ldexp_f32 v7, v7, v14
	v_cndmask_b32_e32 v12, 0, v12, vcc
	v_cmp_nlt_f32_e32 vcc, s8, v11
	v_cndmask_b32_e64 v7, 0, v7, s[0:1]
	v_cmp_nlt_f32_e64 s[0:1], s8, v8
	v_cndmask_b32_e32 v12, v5, v12, vcc
	v_cmp_le_f32_e32 vcc, s12, v11
	v_cndmask_b32_e64 v7, v5, v7, s[0:1]
	v_cmp_le_f32_e64 s[0:1], s12, v8
	v_cndmask_b32_e32 v8, 0, v12, vcc
	s_sub_i32 s4, s4, 32
	v_cndmask_b32_e64 v11, 0, v7, s[0:1]
	v_mul_f32_e32 v7, s15, v8
	v_add_u32_e32 v3, 0xffffc000, v3
	s_cmp_le_i32 s11, s9
	v_fmac_f32_e32 v7, v10, v11
	s_waitcnt vmcnt(0)
	v_mul_f32_e32 v8, v4, v8
	v_fmac_f32_e32 v8, v9, v11
	s_cbranch_scc0 .LBB11_3
	s_branch .LBB11_5
.LBB11_4:
	s_waitcnt lgkmcnt(0)
	v_mov_b32_e32 v7, s5
.LBB11_5:
	s_waitcnt vmcnt(0)
	v_div_scale_f32 v0, s[0:1], v7, v7, v8
	v_div_scale_f32 v3, vcc, v8, v7, v8
	v_rcp_f32_e32 v4, v0
	v_fma_f32 v5, -v0, v4, 1.0
	v_fmac_f32_e32 v4, v5, v4
	v_mul_f32_e32 v5, v3, v4
	v_fma_f32 v6, -v0, v5, v3
	v_fmac_f32_e32 v5, v6, v4
	v_fma_f32 v0, -v0, v5, v3
	v_div_fmas_f32 v0, v0, v4, v5
	v_div_fixup_f32 v0, v0, v7, v8
	global_store_dword v[1:2], v0, off
.LBB11_6:
	s_endpgm
	.section	.rodata,"a",@progbits
	.p2align	6, 0x0
	.amdhsa_kernel _ZL33flash_attn_stream_k_fixup_uniformILi512ELi8ELi4EEvPfPK15HIP_vector_typeIfLj2EEiiiiiiS1_IjLj3EES5_S5_
		.amdhsa_group_segment_fixed_size 0
		.amdhsa_private_segment_fixed_size 0
		.amdhsa_kernarg_size 76
		.amdhsa_user_sgpr_count 6
		.amdhsa_user_sgpr_private_segment_buffer 1
		.amdhsa_user_sgpr_dispatch_ptr 0
		.amdhsa_user_sgpr_queue_ptr 0
		.amdhsa_user_sgpr_kernarg_segment_ptr 1
		.amdhsa_user_sgpr_dispatch_id 0
		.amdhsa_user_sgpr_flat_scratch_init 0
		.amdhsa_user_sgpr_private_segment_size 0
		.amdhsa_uses_dynamic_stack 0
		.amdhsa_system_sgpr_private_segment_wavefront_offset 0
		.amdhsa_system_sgpr_workgroup_id_x 1
		.amdhsa_system_sgpr_workgroup_id_y 1
		.amdhsa_system_sgpr_workgroup_id_z 1
		.amdhsa_system_sgpr_workgroup_info 0
		.amdhsa_system_vgpr_workitem_id 0
		.amdhsa_next_free_vgpr 17
		.amdhsa_next_free_sgpr 20
		.amdhsa_reserve_vcc 1
		.amdhsa_reserve_flat_scratch 0
		.amdhsa_float_round_mode_32 0
		.amdhsa_float_round_mode_16_64 0
		.amdhsa_float_denorm_mode_32 3
		.amdhsa_float_denorm_mode_16_64 3
		.amdhsa_dx10_clamp 1
		.amdhsa_ieee_mode 1
		.amdhsa_fp16_overflow 0
		.amdhsa_exception_fp_ieee_invalid_op 0
		.amdhsa_exception_fp_denorm_src 0
		.amdhsa_exception_fp_ieee_div_zero 0
		.amdhsa_exception_fp_ieee_overflow 0
		.amdhsa_exception_fp_ieee_underflow 0
		.amdhsa_exception_fp_ieee_inexact 0
		.amdhsa_exception_int_div_zero 0
	.end_amdhsa_kernel
	.section	.text._ZL33flash_attn_stream_k_fixup_uniformILi512ELi8ELi4EEvPfPK15HIP_vector_typeIfLj2EEiiiiiiS1_IjLj3EES5_S5_,"axG",@progbits,_ZL33flash_attn_stream_k_fixup_uniformILi512ELi8ELi4EEvPfPK15HIP_vector_typeIfLj2EEiiiiiiS1_IjLj3EES5_S5_,comdat
.Lfunc_end11:
	.size	_ZL33flash_attn_stream_k_fixup_uniformILi512ELi8ELi4EEvPfPK15HIP_vector_typeIfLj2EEiiiiiiS1_IjLj3EES5_S5_, .Lfunc_end11-_ZL33flash_attn_stream_k_fixup_uniformILi512ELi8ELi4EEvPfPK15HIP_vector_typeIfLj2EEiiiiiiS1_IjLj3EES5_S5_
                                        ; -- End function
	.set _ZL33flash_attn_stream_k_fixup_uniformILi512ELi8ELi4EEvPfPK15HIP_vector_typeIfLj2EEiiiiiiS1_IjLj3EES5_S5_.num_vgpr, 17
	.set _ZL33flash_attn_stream_k_fixup_uniformILi512ELi8ELi4EEvPfPK15HIP_vector_typeIfLj2EEiiiiiiS1_IjLj3EES5_S5_.num_agpr, 0
	.set _ZL33flash_attn_stream_k_fixup_uniformILi512ELi8ELi4EEvPfPK15HIP_vector_typeIfLj2EEiiiiiiS1_IjLj3EES5_S5_.numbered_sgpr, 20
	.set _ZL33flash_attn_stream_k_fixup_uniformILi512ELi8ELi4EEvPfPK15HIP_vector_typeIfLj2EEiiiiiiS1_IjLj3EES5_S5_.num_named_barrier, 0
	.set _ZL33flash_attn_stream_k_fixup_uniformILi512ELi8ELi4EEvPfPK15HIP_vector_typeIfLj2EEiiiiiiS1_IjLj3EES5_S5_.private_seg_size, 0
	.set _ZL33flash_attn_stream_k_fixup_uniformILi512ELi8ELi4EEvPfPK15HIP_vector_typeIfLj2EEiiiiiiS1_IjLj3EES5_S5_.uses_vcc, 1
	.set _ZL33flash_attn_stream_k_fixup_uniformILi512ELi8ELi4EEvPfPK15HIP_vector_typeIfLj2EEiiiiiiS1_IjLj3EES5_S5_.uses_flat_scratch, 0
	.set _ZL33flash_attn_stream_k_fixup_uniformILi512ELi8ELi4EEvPfPK15HIP_vector_typeIfLj2EEiiiiiiS1_IjLj3EES5_S5_.has_dyn_sized_stack, 0
	.set _ZL33flash_attn_stream_k_fixup_uniformILi512ELi8ELi4EEvPfPK15HIP_vector_typeIfLj2EEiiiiiiS1_IjLj3EES5_S5_.has_recursion, 0
	.set _ZL33flash_attn_stream_k_fixup_uniformILi512ELi8ELi4EEvPfPK15HIP_vector_typeIfLj2EEiiiiiiS1_IjLj3EES5_S5_.has_indirect_call, 0
	.section	.AMDGPU.csdata,"",@progbits
; Kernel info:
; codeLenInByte = 856
; TotalNumSgprs: 24
; NumVgprs: 17
; ScratchSize: 0
; MemoryBound: 0
; FloatMode: 240
; IeeeMode: 1
; LDSByteSize: 0 bytes/workgroup (compile time only)
; SGPRBlocks: 2
; VGPRBlocks: 4
; NumSGPRsForWavesPerEU: 24
; NumVGPRsForWavesPerEU: 17
; Occupancy: 10
; WaveLimiterHint : 0
; COMPUTE_PGM_RSRC2:SCRATCH_EN: 0
; COMPUTE_PGM_RSRC2:USER_SGPR: 6
; COMPUTE_PGM_RSRC2:TRAP_HANDLER: 0
; COMPUTE_PGM_RSRC2:TGID_X_EN: 1
; COMPUTE_PGM_RSRC2:TGID_Y_EN: 1
; COMPUTE_PGM_RSRC2:TGID_Z_EN: 1
; COMPUTE_PGM_RSRC2:TIDIG_COMP_CNT: 0
	.section	.text._ZL33flash_attn_stream_k_fixup_generalILi512ELi8ELi4EEvPfPK15HIP_vector_typeIfLj2EEiiiiS1_IjLj3EES5_S5_S5_,"axG",@progbits,_ZL33flash_attn_stream_k_fixup_generalILi512ELi8ELi4EEvPfPK15HIP_vector_typeIfLj2EEiiiiS1_IjLj3EES5_S5_S5_,comdat
	.globl	_ZL33flash_attn_stream_k_fixup_generalILi512ELi8ELi4EEvPfPK15HIP_vector_typeIfLj2EEiiiiS1_IjLj3EES5_S5_S5_ ; -- Begin function _ZL33flash_attn_stream_k_fixup_generalILi512ELi8ELi4EEvPfPK15HIP_vector_typeIfLj2EEiiiiS1_IjLj3EES5_S5_S5_
	.p2align	8
	.type	_ZL33flash_attn_stream_k_fixup_generalILi512ELi8ELi4EEvPfPK15HIP_vector_typeIfLj2EEiiiiS1_IjLj3EES5_S5_S5_,@function
_ZL33flash_attn_stream_k_fixup_generalILi512ELi8ELi4EEvPfPK15HIP_vector_typeIfLj2EEiiiiS1_IjLj3EES5_S5_S5_: ; @_ZL33flash_attn_stream_k_fixup_generalILi512ELi8ELi4EEvPfPK15HIP_vector_typeIfLj2EEiiiiS1_IjLj3EES5_S5_S5_
; %bb.0:
	s_load_dwordx4 s[0:3], s[4:5], 0x10
	s_load_dword s22, s[4:5], 0x50
	s_mov_b32 s12, 0
	s_waitcnt lgkmcnt(0)
	s_mul_hi_i32 s13, s3, s6
	s_cmp_lg_u64 s[12:13], 0
	s_mul_i32 s9, s3, s6
	s_cbranch_scc0 .LBB12_20
; %bb.1:
	s_add_u32 s10, s22, 0
	s_addc_u32 s11, 0, 0
	s_xor_b64 s[10:11], s[10:11], 0
	v_cvt_f32_u32_e32 v1, s10
	v_cvt_f32_u32_e32 v2, s11
	s_sub_u32 s12, 0, s10
	s_subb_u32 s18, 0, s11
	v_madmk_f32 v1, v2, 0x4f800000, v1
	v_rcp_f32_e32 v1, v1
	v_mul_f32_e32 v1, 0x5f7ffffc, v1
	v_mul_f32_e32 v2, 0x2f800000, v1
	v_trunc_f32_e32 v2, v2
	v_madmk_f32 v1, v2, 0xcf800000, v1
	v_cvt_u32_f32_e32 v2, v2
	v_cvt_u32_f32_e32 v1, v1
	v_readfirstlane_b32 s19, v2
	v_readfirstlane_b32 s14, v1
	s_mul_i32 s15, s12, s19
	s_mul_hi_u32 s21, s12, s14
	s_mul_i32 s20, s18, s14
	s_add_i32 s15, s21, s15
	s_add_i32 s15, s15, s20
	s_mul_i32 s23, s12, s14
	s_mul_i32 s21, s14, s15
	s_mul_hi_u32 s24, s14, s23
	s_mul_hi_u32 s20, s14, s15
	s_add_u32 s21, s24, s21
	s_addc_u32 s20, 0, s20
	s_mul_hi_u32 s25, s19, s23
	s_mul_i32 s23, s19, s23
	s_add_u32 s21, s21, s23
	s_mul_hi_u32 s24, s19, s15
	s_addc_u32 s20, s20, s25
	s_addc_u32 s21, s24, 0
	s_mul_i32 s15, s19, s15
	s_add_u32 s15, s20, s15
	s_addc_u32 s20, 0, s21
	s_add_u32 s21, s14, s15
	s_cselect_b64 s[14:15], -1, 0
	s_cmp_lg_u64 s[14:15], 0
	s_addc_u32 s19, s19, s20
	s_mul_i32 s14, s12, s19
	s_mul_hi_u32 s15, s12, s21
	s_add_i32 s14, s15, s14
	s_mul_i32 s18, s18, s21
	s_add_i32 s14, s14, s18
	s_mul_i32 s12, s12, s21
	s_mul_hi_u32 s18, s19, s12
	s_mul_i32 s20, s19, s12
	s_mul_i32 s24, s21, s14
	s_mul_hi_u32 s12, s21, s12
	s_mul_hi_u32 s23, s21, s14
	s_add_u32 s12, s12, s24
	s_addc_u32 s23, 0, s23
	s_add_u32 s12, s12, s20
	s_mul_hi_u32 s15, s19, s14
	s_addc_u32 s12, s23, s18
	s_addc_u32 s15, s15, 0
	s_mul_i32 s14, s19, s14
	s_add_u32 s12, s12, s14
	s_addc_u32 s18, 0, s15
	s_add_u32 s20, s21, s12
	s_cselect_b64 s[14:15], -1, 0
	s_cmp_lg_u64 s[14:15], 0
	s_addc_u32 s18, s19, s18
	s_ashr_i32 s14, s13, 31
	s_add_u32 s12, s9, s14
	s_mov_b32 s15, s14
	s_addc_u32 s13, s13, s14
	s_xor_b64 s[12:13], s[12:13], s[14:15]
	s_mul_i32 s21, s12, s18
	s_mul_hi_u32 s23, s12, s20
	s_mul_hi_u32 s19, s12, s18
	s_add_u32 s21, s23, s21
	s_addc_u32 s19, 0, s19
	s_mul_hi_u32 s24, s13, s20
	s_mul_i32 s20, s13, s20
	s_add_u32 s20, s21, s20
	s_mul_hi_u32 s23, s13, s18
	s_addc_u32 s19, s19, s24
	s_addc_u32 s20, s23, 0
	s_mul_i32 s18, s13, s18
	s_add_u32 s23, s19, s18
	s_addc_u32 s24, 0, s20
	s_mul_i32 s18, s10, s24
	s_mul_hi_u32 s19, s10, s23
	s_add_i32 s18, s19, s18
	s_mul_i32 s19, s11, s23
	s_add_i32 s25, s18, s19
	s_sub_i32 s20, s13, s25
	s_mul_i32 s18, s10, s23
	s_sub_u32 s12, s12, s18
	s_cselect_b64 s[18:19], -1, 0
	s_cmp_lg_u64 s[18:19], 0
	s_subb_u32 s26, s20, s11
	s_sub_u32 s27, s12, s10
	s_cselect_b64 s[20:21], -1, 0
	s_cmp_lg_u64 s[20:21], 0
	s_subb_u32 s20, s26, 0
	s_cmp_ge_u32 s20, s11
	s_cselect_b32 s21, -1, 0
	s_cmp_ge_u32 s27, s10
	s_cselect_b32 s26, -1, 0
	s_cmp_eq_u32 s20, s11
	s_cselect_b32 s20, s26, s21
	s_add_u32 s21, s23, 1
	s_addc_u32 s26, s24, 0
	s_add_u32 s27, s23, 2
	s_addc_u32 s28, s24, 0
	s_cmp_lg_u32 s20, 0
	s_cselect_b32 s20, s27, s21
	s_cselect_b32 s21, s28, s26
	s_cmp_lg_u64 s[18:19], 0
	s_subb_u32 s13, s13, s25
	s_cmp_ge_u32 s13, s11
	s_cselect_b32 s18, -1, 0
	s_cmp_ge_u32 s12, s10
	s_cselect_b32 s10, -1, 0
	s_cmp_eq_u32 s13, s11
	s_cselect_b32 s10, s10, s18
	s_cmp_lg_u32 s10, 0
	s_cselect_b32 s11, s21, s24
	s_cselect_b32 s10, s20, s23
	s_xor_b64 s[12:13], s[14:15], 0
	s_xor_b64 s[10:11], s[10:11], s[12:13]
	s_sub_u32 s10, s10, s12
	s_load_dwordx4 s[12:15], s[4:5], 0x44
	s_cbranch_execnz .LBB12_3
.LBB12_2:
	v_cvt_f32_u32_e32 v1, s22
	s_sub_i32 s10, 0, s22
	v_rcp_iflag_f32_e32 v1, v1
	v_mul_f32_e32 v1, 0x4f7ffffe, v1
	v_cvt_u32_f32_e32 v1, v1
	v_readfirstlane_b32 s11, v1
	s_mul_i32 s10, s10, s11
	s_mul_hi_u32 s10, s11, s10
	s_add_i32 s11, s11, s10
	s_mul_hi_u32 s10, s9, s11
	s_waitcnt lgkmcnt(0)
	s_mul_i32 s15, s10, s22
	s_sub_i32 s9, s9, s15
	s_add_i32 s11, s10, 1
	s_sub_i32 s15, s9, s22
	s_cmp_ge_u32 s9, s22
	s_cselect_b32 s10, s11, s10
	s_cselect_b32 s9, s15, s9
	s_add_i32 s11, s10, 1
	s_cmp_ge_u32 s9, s22
	s_cselect_b32 s10, s11, s10
.LBB12_3:
	s_add_i32 s9, s6, 1
	s_mul_hi_i32 s21, s3, s9
	s_mov_b32 s20, 0
	s_cmp_lg_u64 s[20:21], 0
	s_mul_i32 s9, s3, s9
	s_cbranch_scc0 .LBB12_21
; %bb.4:
	s_add_u32 s16, s22, 0
	s_addc_u32 s17, 0, 0
	s_xor_b64 s[18:19], s[16:17], 0
	v_cvt_f32_u32_e32 v1, s18
	v_cvt_f32_u32_e32 v2, s19
	s_sub_u32 s11, 0, s18
	s_waitcnt lgkmcnt(0)
	s_subb_u32 s15, 0, s19
	v_madmk_f32 v1, v2, 0x4f800000, v1
	v_rcp_f32_e32 v1, v1
	v_mul_f32_e32 v1, 0x5f7ffffc, v1
	v_mul_f32_e32 v2, 0x2f800000, v1
	v_trunc_f32_e32 v2, v2
	v_madmk_f32 v1, v2, 0xcf800000, v1
	v_cvt_u32_f32_e32 v2, v2
	v_cvt_u32_f32_e32 v1, v1
	v_readfirstlane_b32 s20, v2
	v_readfirstlane_b32 s23, v1
	s_mul_i32 s24, s11, s20
	s_mul_hi_u32 s26, s11, s23
	s_mul_i32 s25, s15, s23
	s_add_i32 s24, s26, s24
	s_add_i32 s24, s24, s25
	s_mul_i32 s27, s11, s23
	s_mul_i32 s26, s23, s24
	s_mul_hi_u32 s28, s23, s27
	s_mul_hi_u32 s25, s23, s24
	s_add_u32 s26, s28, s26
	s_addc_u32 s25, 0, s25
	s_mul_hi_u32 s29, s20, s27
	s_mul_i32 s27, s20, s27
	s_add_u32 s26, s26, s27
	s_mul_hi_u32 s28, s20, s24
	s_addc_u32 s25, s25, s29
	s_addc_u32 s26, s28, 0
	s_mul_i32 s24, s20, s24
	s_add_u32 s24, s25, s24
	s_addc_u32 s26, 0, s26
	s_add_u32 s23, s23, s24
	s_cselect_b64 s[24:25], -1, 0
	s_cmp_lg_u64 s[24:25], 0
	s_addc_u32 s20, s20, s26
	s_mul_i32 s24, s11, s20
	s_mul_hi_u32 s25, s11, s23
	s_add_i32 s24, s25, s24
	s_mul_i32 s15, s15, s23
	s_add_i32 s24, s24, s15
	s_mul_i32 s11, s11, s23
	s_mul_hi_u32 s25, s20, s11
	s_mul_i32 s26, s20, s11
	s_mul_i32 s28, s23, s24
	s_mul_hi_u32 s11, s23, s11
	s_mul_hi_u32 s27, s23, s24
	s_add_u32 s11, s11, s28
	s_addc_u32 s27, 0, s27
	s_add_u32 s11, s11, s26
	s_mul_hi_u32 s15, s20, s24
	s_addc_u32 s11, s27, s25
	s_addc_u32 s15, s15, 0
	s_mul_i32 s24, s20, s24
	s_add_u32 s11, s11, s24
	s_addc_u32 s15, 0, s15
	s_add_u32 s11, s23, s11
	s_cselect_b64 s[24:25], -1, 0
	s_cmp_lg_u64 s[24:25], 0
	s_addc_u32 s15, s20, s15
	s_ashr_i32 s24, s21, 31
	s_add_u32 s20, s9, s24
	s_mov_b32 s25, s24
	s_addc_u32 s21, s21, s24
	s_xor_b64 s[20:21], s[20:21], s[24:25]
	s_mul_i32 s26, s20, s15
	s_mul_hi_u32 s27, s20, s11
	s_mul_hi_u32 s23, s20, s15
	s_add_u32 s26, s27, s26
	s_addc_u32 s23, 0, s23
	s_mul_hi_u32 s28, s21, s11
	s_mul_i32 s11, s21, s11
	s_add_u32 s11, s26, s11
	s_mul_hi_u32 s27, s21, s15
	s_addc_u32 s11, s23, s28
	s_addc_u32 s23, s27, 0
	s_mul_i32 s15, s21, s15
	s_add_u32 s11, s11, s15
	s_addc_u32 s15, 0, s23
	s_mul_i32 s23, s18, s15
	s_mul_hi_u32 s26, s18, s11
	s_add_i32 s23, s26, s23
	s_mul_i32 s26, s19, s11
	s_add_i32 s23, s23, s26
	s_sub_i32 s28, s21, s23
	s_mul_i32 s26, s18, s11
	s_sub_u32 s20, s20, s26
	s_cselect_b64 s[26:27], -1, 0
	s_cmp_lg_u64 s[26:27], 0
	s_subb_u32 s30, s28, s19
	s_sub_u32 s31, s20, s18
	s_cselect_b64 s[28:29], -1, 0
	s_cmp_lg_u64 s[28:29], 0
	s_subb_u32 s28, s30, 0
	s_cmp_ge_u32 s28, s19
	s_cselect_b32 s29, -1, 0
	s_cmp_ge_u32 s31, s18
	s_cselect_b32 s30, -1, 0
	s_cmp_eq_u32 s28, s19
	s_cselect_b32 s28, s30, s29
	s_add_u32 s29, s11, 1
	s_addc_u32 s30, s15, 0
	s_add_u32 s31, s11, 2
	s_addc_u32 s33, s15, 0
	s_cmp_lg_u32 s28, 0
	s_cselect_b32 s28, s31, s29
	s_cselect_b32 s29, s33, s30
	s_cmp_lg_u64 s[26:27], 0
	s_subb_u32 s21, s21, s23
	s_cmp_ge_u32 s21, s19
	s_cselect_b32 s23, -1, 0
	s_cmp_ge_u32 s20, s18
	s_cselect_b32 s18, -1, 0
	s_cmp_eq_u32 s21, s19
	s_cselect_b32 s18, s18, s23
	s_cmp_lg_u32 s18, 0
	s_cselect_b32 s19, s29, s15
	s_cselect_b32 s18, s28, s11
	s_xor_b64 s[20:21], s[24:25], 0
	s_xor_b64 s[18:19], s[18:19], s[20:21]
	s_sub_u32 s18, s18, s20
	s_cbranch_execnz .LBB12_6
.LBB12_5:
	v_cvt_f32_u32_e32 v1, s22
	s_sub_i32 s11, 0, s22
	v_rcp_iflag_f32_e32 v1, v1
	v_mul_f32_e32 v1, 0x4f7ffffe, v1
	v_cvt_u32_f32_e32 v1, v1
	s_waitcnt lgkmcnt(0)
	v_readfirstlane_b32 s15, v1
	s_mul_i32 s11, s11, s15
	s_mul_hi_u32 s11, s15, s11
	s_add_i32 s15, s15, s11
	s_mul_hi_u32 s11, s9, s15
	s_mul_i32 s16, s11, s22
	s_sub_i32 s9, s9, s16
	s_add_i32 s15, s11, 1
	s_sub_i32 s16, s9, s22
	s_cmp_ge_u32 s9, s22
	s_cselect_b32 s11, s15, s11
	s_cselect_b32 s9, s16, s9
	s_add_i32 s15, s11, 1
	s_cmp_ge_u32 s9, s22
	s_cselect_b32 s18, s15, s11
.LBB12_6:
	s_cmp_eq_u32 s10, s18
	s_waitcnt lgkmcnt(0)
	s_mul_hi_u32 s9, s10, s12
	s_cselect_b64 s[16:17], -1, 0
	s_add_i32 s9, s9, s10
	s_lshr_b32 s11, s9, s13
	s_mul_i32 s9, s11, s14
	s_cmp_eq_u32 s9, s10
	s_mul_hi_u32 s9, s18, s12
	s_cselect_b64 s[20:21], -1, 0
	s_add_i32 s9, s9, s18
	s_lshr_b32 s9, s9, s13
	s_cmp_eq_u32 s11, s9
	s_mul_i32 s9, s9, s14
	s_cselect_b64 s[24:25], -1, 0
	s_cmp_lg_u32 s9, s18
	s_cselect_b64 s[18:19], -1, 0
	s_and_b64 s[18:19], s[24:25], s[18:19]
	s_or_b64 s[16:17], s[16:17], s[20:21]
	s_or_b64 s[16:17], s[16:17], s[18:19]
	s_and_b64 vcc, exec, s[16:17]
	s_cbranch_vccnz .LBB12_23
; %bb.7:
	s_load_dwordx8 s[24:31], s[4:5], 0x20
	s_load_dword s15, s[4:5], 0x40
	s_waitcnt lgkmcnt(0)
	s_mul_hi_u32 s9, s10, s24
	s_add_i32 s9, s9, s10
	s_lshr_b32 s9, s9, s25
	s_mul_i32 s16, s9, s26
	s_sub_i32 s16, s10, s16
	s_mul_hi_u32 s17, s16, s27
	s_add_i32 s17, s16, s17
	s_lshr_b32 s23, s17, s28
	s_mul_i32 s17, s23, s29
	s_sub_i32 s16, s16, s17
	;; [unrolled: 5-line block ×3, first 2 shown]
	s_mul_hi_u32 s16, s15, s12
	s_add_i32 s15, s15, s16
	s_lshr_b32 s25, s15, s13
	s_lshl_b32 s15, s25, 3
	s_lshl_b32 s24, s17, 2
	s_add_i32 s15, s15, s7
	s_cmp_lt_i32 s15, s0
	s_cselect_b64 s[16:17], -1, 0
	s_add_i32 s15, s24, s8
	s_cmp_lt_i32 s15, s2
	s_cselect_b64 s[18:19], -1, 0
	s_and_b64 s[16:17], s[16:17], s[18:19]
	s_andn2_b64 vcc, exec, s[16:17]
	s_cbranch_vccnz .LBB12_23
; %bb.8:
	s_load_dwordx4 s[16:19], s[4:5], 0x0
	s_mov_b32 s4, 0
	s_lshl_b32 s15, s7, 2
	s_lshl_b32 s20, s22, 7
	s_mov_b32 s21, s4
	s_add_i32 s15, s15, s8
	s_lshl_b64 s[20:21], s[20:21], 2
	s_waitcnt lgkmcnt(0)
	s_add_u32 s20, s18, s20
	s_mul_i32 s0, s9, s0
	s_addc_u32 s21, s19, s21
	s_add_i32 s0, s0, s7
	s_mul_i32 s0, s0, s1
	s_mul_i32 s23, s23, s2
	s_add_i32 s0, s0, s8
	s_add_i32 s0, s0, s23
	s_mul_i32 s2, s1, s25
	s_add_i32 s0, s0, s24
	s_lshl_b32 s2, s2, 12
	s_lshl_b32 s0, s0, 9
	s_add_i32 s2, s2, s0
	v_or_b32_e32 v1, s2, v0
	v_ashrrev_i32_e32 v2, 31, v1
	v_lshlrev_b64 v[1:2], 2, v[1:2]
	v_mov_b32_e32 v3, s17
	v_add_co_u32_e32 v1, vcc, s16, v1
	v_addc_co_u32_e32 v2, vcc, v3, v2, vcc
	global_load_dword v3, v[1:2], off
	v_cvt_f32_u32_e32 v4, s22
	s_lshl_b32 s0, s6, 5
	s_add_i32 s0, s15, s0
	s_ashr_i32 s1, s0, 31
	s_lshl_b64 s[0:1], s[0:1], 3
	v_rcp_iflag_f32_e32 v4, v4
	s_add_u32 s0, s18, s0
	s_addc_u32 s1, s19, s1
	s_load_dwordx2 s[0:1], s[0:1], 0x0
	v_mul_f32_e32 v4, 0x4f7ffffe, v4
	v_cvt_u32_f32_e32 v4, v4
	s_add_i32 s24, s6, -1
	v_lshl_or_b32 v0, s15, 9, v0
	s_waitcnt lgkmcnt(0)
	v_mov_b32_e32 v6, s1
	v_mov_b32_e32 v7, s0
	s_mov_b32 s2, 0x3fb8aa3b
	s_mov_b32 s16, 0xc2ce8ed0
	;; [unrolled: 1-line block ×4, first 2 shown]
	v_mov_b32_e32 v5, 0x7f800000
	s_mul_hi_i32 s5, s24, s3
	s_cmp_lg_u64 s[4:5], 0
	s_mul_i32 s8, s24, s3
	s_cbranch_scc0 .LBB12_19
.LBB12_9:
	s_add_u32 s0, s22, 0
	s_addc_u32 s1, 0, 0
	s_xor_b64 s[0:1], s[0:1], 0
	v_cvt_f32_u32_e32 v8, s0
	v_cvt_f32_u32_e32 v9, s1
	s_sub_u32 s9, 0, s0
	s_subb_u32 s25, 0, s1
	v_mac_f32_e32 v8, 0x4f800000, v9
	v_rcp_f32_e32 v8, v8
	v_mul_f32_e32 v8, 0x5f7ffffc, v8
	v_mul_f32_e32 v9, 0x2f800000, v8
	v_trunc_f32_e32 v9, v9
	v_mac_f32_e32 v8, 0xcf800000, v9
	v_cvt_u32_f32_e32 v9, v9
	v_cvt_u32_f32_e32 v8, v8
	v_readfirstlane_b32 s26, v9
	v_readfirstlane_b32 s6, v8
	s_mul_i32 s7, s9, s26
	s_mul_hi_u32 s28, s9, s6
	s_mul_i32 s27, s25, s6
	s_add_i32 s7, s28, s7
	s_mul_i32 s29, s9, s6
	s_add_i32 s7, s7, s27
	s_mul_i32 s28, s6, s7
	s_mul_hi_u32 s30, s6, s29
	s_mul_hi_u32 s27, s6, s7
	s_add_u32 s28, s30, s28
	s_addc_u32 s27, 0, s27
	s_mul_hi_u32 s31, s26, s29
	s_mul_i32 s29, s26, s29
	s_add_u32 s28, s28, s29
	s_mul_hi_u32 s30, s26, s7
	s_addc_u32 s27, s27, s31
	s_addc_u32 s28, s30, 0
	s_mul_i32 s7, s26, s7
	s_add_u32 s7, s27, s7
	s_addc_u32 s27, 0, s28
	s_add_u32 s28, s6, s7
	s_cselect_b64 s[6:7], -1, 0
	s_cmp_lg_u64 s[6:7], 0
	s_addc_u32 s26, s26, s27
	s_mul_i32 s6, s9, s26
	s_mul_hi_u32 s7, s9, s28
	s_add_i32 s6, s7, s6
	s_mul_i32 s25, s25, s28
	s_add_i32 s6, s6, s25
	s_mul_i32 s9, s9, s28
	s_mul_hi_u32 s25, s26, s9
	s_mul_i32 s27, s26, s9
	s_mul_i32 s30, s28, s6
	s_mul_hi_u32 s9, s28, s9
	s_mul_hi_u32 s29, s28, s6
	s_add_u32 s9, s9, s30
	s_addc_u32 s29, 0, s29
	s_add_u32 s9, s9, s27
	s_mul_hi_u32 s7, s26, s6
	s_addc_u32 s9, s29, s25
	s_addc_u32 s7, s7, 0
	s_mul_i32 s6, s26, s6
	s_add_u32 s6, s9, s6
	s_addc_u32 s9, 0, s7
	s_add_u32 s25, s28, s6
	s_cselect_b64 s[6:7], -1, 0
	s_cmp_lg_u64 s[6:7], 0
	s_addc_u32 s9, s26, s9
	s_ashr_i32 s6, s5, 31
	s_add_u32 s26, s8, s6
	s_mov_b32 s7, s6
	s_addc_u32 s27, s5, s6
	s_xor_b64 s[26:27], s[26:27], s[6:7]
	s_mul_i32 s28, s26, s9
	s_mul_hi_u32 s29, s26, s25
	s_mul_hi_u32 s5, s26, s9
	s_add_u32 s28, s29, s28
	s_addc_u32 s5, 0, s5
	s_mul_hi_u32 s30, s27, s25
	s_mul_i32 s25, s27, s25
	s_add_u32 s25, s28, s25
	s_mul_hi_u32 s29, s27, s9
	s_addc_u32 s5, s5, s30
	s_addc_u32 s25, s29, 0
	s_mul_i32 s9, s27, s9
	s_add_u32 s5, s5, s9
	s_addc_u32 s9, 0, s25
	s_mul_i32 s25, s0, s9
	s_mul_hi_u32 s28, s0, s5
	s_add_i32 s25, s28, s25
	s_mul_i32 s28, s1, s5
	s_add_i32 s25, s25, s28
	s_sub_i32 s30, s27, s25
	s_mul_i32 s28, s0, s5
	s_sub_u32 s26, s26, s28
	s_cselect_b64 s[28:29], -1, 0
	s_cmp_lg_u64 s[28:29], 0
	s_subb_u32 s33, s30, s1
	s_sub_u32 s34, s26, s0
	s_cselect_b64 s[30:31], -1, 0
	s_cmp_lg_u64 s[30:31], 0
	s_subb_u32 s30, s33, 0
	s_cmp_ge_u32 s30, s1
	s_cselect_b32 s31, -1, 0
	s_cmp_ge_u32 s34, s0
	s_cselect_b32 s33, -1, 0
	s_cmp_eq_u32 s30, s1
	s_cselect_b32 s30, s33, s31
	s_add_u32 s31, s5, 1
	s_addc_u32 s33, s9, 0
	s_add_u32 s34, s5, 2
	s_addc_u32 s35, s9, 0
	s_cmp_lg_u32 s30, 0
	s_cselect_b32 s30, s34, s31
	s_cselect_b32 s31, s35, s33
	s_cmp_lg_u64 s[28:29], 0
	s_subb_u32 s25, s27, s25
	s_cmp_ge_u32 s25, s1
	s_cselect_b32 s27, -1, 0
	s_cmp_ge_u32 s26, s0
	s_cselect_b32 s0, -1, 0
	s_cmp_eq_u32 s25, s1
	s_cselect_b32 s0, s0, s27
	s_cmp_lg_u32 s0, 0
	s_cselect_b32 s1, s31, s9
	s_cselect_b32 s0, s30, s5
	s_xor_b64 s[6:7], s[6:7], 0
	s_xor_b64 s[0:1], s[0:1], s[6:7]
	s_sub_u32 s6, s0, s6
	s_cbranch_execnz .LBB12_11
.LBB12_10:
	s_sub_i32 s0, 0, s22
	v_readfirstlane_b32 s1, v4
	s_mul_i32 s0, s0, s1
	s_mul_hi_u32 s0, s1, s0
	s_add_i32 s1, s1, s0
	s_mul_hi_u32 s0, s8, s1
	s_mul_i32 s5, s0, s22
	s_sub_i32 s5, s8, s5
	s_add_i32 s1, s0, 1
	s_sub_i32 s6, s5, s22
	s_cmp_ge_u32 s5, s22
	s_cselect_b32 s0, s1, s0
	s_cselect_b32 s5, s6, s5
	s_add_i32 s1, s0, 1
	s_cmp_ge_u32 s5, s22
	s_cselect_b32 s6, s1, s0
.LBB12_11:
	s_cmp_lg_u32 s10, s6
	s_mov_b64 s[8:9], -1
                                        ; implicit-def: $sgpr0_sgpr1
                                        ; implicit-def: $vgpr10
                                        ; implicit-def: $vgpr8
                                        ; implicit-def: $vgpr9
                                        ; implicit-def: $sgpr5
                                        ; implicit-def: $sgpr7
	s_cbranch_scc1 .LBB12_14
; %bb.12:
	s_andn2_b64 vcc, exec, s[8:9]
	s_cbranch_vccz .LBB12_17
.LBB12_13:
	s_andn2_b64 vcc, exec, s[0:1]
	s_cbranch_vccnz .LBB12_18
	s_branch .LBB12_22
.LBB12_14:
	s_add_i32 s0, s24, s22
	s_lshl_b32 s0, s0, 5
	s_add_i32 s0, s0, s15
	s_mov_b32 s1, s4
	s_lshl_b64 s[0:1], s[0:1], 3
	s_add_u32 s8, s18, s0
	s_mul_hi_u32 s0, s6, s12
	s_addc_u32 s9, s19, s1
	s_add_i32 s0, s0, s6
	s_lshr_b32 s5, s0, s13
	s_mul_i32 s0, s5, s14
	s_cmp_eq_u32 s0, s6
	s_cselect_b64 s[0:1], -1, 0
	s_cmp_lt_u32 s5, s11
	s_cselect_b64 s[26:27], -1, 0
	s_or_b64 s[26:27], s[26:27], s[0:1]
	s_mov_b64 s[0:1], -1
	s_and_b64 vcc, exec, s[26:27]
	s_mov_b32 s5, s24
	s_mov_b32 s7, s10
	s_cbranch_vccnz .LBB12_16
; %bb.15:
	s_add_i32 s5, s24, -1
	s_mov_b64 s[0:1], 0
	s_mov_b32 s7, s6
.LBB12_16:
	v_lshl_add_u32 v8, s24, 14, v0
	v_ashrrev_i32_e32 v9, 31, v8
	v_lshlrev_b64 v[8:9], 2, v[8:9]
	v_mov_b32_e32 v10, s21
	v_add_co_u32_e32 v8, vcc, s20, v8
	v_addc_co_u32_e32 v9, vcc, v10, v9, vcc
	global_load_dword v10, v[8:9], off
	s_load_dwordx2 s[8:9], s[8:9], 0x0
	v_max_f32_e32 v8, v7, v7
	s_waitcnt lgkmcnt(0)
	v_max_f32_e64 v9, s8, s8
	v_max_f32_e32 v8, v8, v9
	v_sub_f32_e32 v9, v7, v8
	v_sub_f32_e32 v11, s8, v8
	v_mul_f32_e32 v12, 0x3fb8aa3b, v9
	v_mul_f32_e32 v13, 0x3fb8aa3b, v11
	v_fma_f32 v14, v9, s2, -v12
	v_rndne_f32_e32 v15, v12
	v_fma_f32 v16, v11, s2, -v13
	v_rndne_f32_e32 v17, v13
	v_fmac_f32_e32 v14, 0x32a5705f, v9
	v_sub_f32_e32 v12, v12, v15
	v_fmac_f32_e32 v16, 0x32a5705f, v11
	v_sub_f32_e32 v13, v13, v17
	v_add_f32_e32 v12, v12, v14
	v_cvt_i32_f32_e32 v15, v15
	v_add_f32_e32 v13, v13, v16
	v_exp_f32_e32 v12, v12
	v_cvt_i32_f32_e32 v17, v17
	v_exp_f32_e32 v13, v13
	v_cmp_ngt_f32_e32 vcc, s16, v9
	v_ldexp_f32 v12, v12, v15
	v_cndmask_b32_e32 v12, 0, v12, vcc
	v_ldexp_f32 v13, v13, v17
	v_cmp_ngt_f32_e32 vcc, s16, v11
	v_cndmask_b32_e32 v13, 0, v13, vcc
	v_cmp_nlt_f32_e32 vcc, s17, v9
	v_cndmask_b32_e32 v12, v5, v12, vcc
	v_cmp_nlt_f32_e32 vcc, s17, v11
	v_cndmask_b32_e32 v13, v5, v13, vcc
	v_cmp_le_f32_e32 vcc, s23, v9
	v_cndmask_b32_e32 v12, 0, v12, vcc
	v_cmp_le_f32_e32 vcc, s23, v11
	v_cndmask_b32_e32 v11, 0, v13, vcc
	v_mul_f32_e32 v9, s9, v11
	v_fmac_f32_e32 v9, v6, v12
	s_waitcnt vmcnt(0)
	v_mul_f32_e32 v10, v10, v11
	v_fmac_f32_e32 v10, v3, v12
	s_cbranch_execnz .LBB12_13
.LBB12_17:
	s_add_i32 s5, s24, -1
	s_mov_b32 s7, s10
	v_mov_b32_e32 v9, v6
	v_mov_b32_e32 v8, v7
	s_waitcnt vmcnt(0)
	v_mov_b32_e32 v10, v3
	s_cbranch_execz .LBB12_22
.LBB12_18:
	s_mov_b32 s10, s7
	s_mov_b32 s24, s5
	v_mov_b32_e32 v6, v9
	v_mov_b32_e32 v7, v8
	s_waitcnt vmcnt(0)
	v_mov_b32_e32 v3, v10
	s_mul_hi_i32 s5, s24, s3
	s_cmp_lg_u64 s[4:5], 0
	s_mul_i32 s8, s24, s3
	s_cbranch_scc1 .LBB12_9
.LBB12_19:
                                        ; implicit-def: $sgpr6_sgpr7
	s_branch .LBB12_10
.LBB12_20:
                                        ; implicit-def: $sgpr10_sgpr11
	s_load_dwordx4 s[12:15], s[4:5], 0x44
	s_branch .LBB12_2
.LBB12_21:
                                        ; implicit-def: $sgpr18_sgpr19
	s_branch .LBB12_5
.LBB12_22:
	v_div_scale_f32 v0, s[0:1], v9, v9, v10
	s_waitcnt vmcnt(0)
	v_div_scale_f32 v3, vcc, v10, v9, v10
	v_rcp_f32_e32 v4, v0
	v_fma_f32 v5, -v0, v4, 1.0
	v_fmac_f32_e32 v4, v5, v4
	v_mul_f32_e32 v5, v3, v4
	v_fma_f32 v6, -v0, v5, v3
	v_fmac_f32_e32 v5, v6, v4
	v_fma_f32 v0, -v0, v5, v3
	v_div_fmas_f32 v0, v0, v4, v5
	v_div_fixup_f32 v0, v0, v9, v10
	global_store_dword v[1:2], v0, off
.LBB12_23:
	s_endpgm
	.section	.rodata,"a",@progbits
	.p2align	6, 0x0
	.amdhsa_kernel _ZL33flash_attn_stream_k_fixup_generalILi512ELi8ELi4EEvPfPK15HIP_vector_typeIfLj2EEiiiiS1_IjLj3EES5_S5_S5_
		.amdhsa_group_segment_fixed_size 0
		.amdhsa_private_segment_fixed_size 0
		.amdhsa_kernarg_size 336
		.amdhsa_user_sgpr_count 6
		.amdhsa_user_sgpr_private_segment_buffer 1
		.amdhsa_user_sgpr_dispatch_ptr 0
		.amdhsa_user_sgpr_queue_ptr 0
		.amdhsa_user_sgpr_kernarg_segment_ptr 1
		.amdhsa_user_sgpr_dispatch_id 0
		.amdhsa_user_sgpr_flat_scratch_init 0
		.amdhsa_user_sgpr_private_segment_size 0
		.amdhsa_uses_dynamic_stack 0
		.amdhsa_system_sgpr_private_segment_wavefront_offset 0
		.amdhsa_system_sgpr_workgroup_id_x 1
		.amdhsa_system_sgpr_workgroup_id_y 1
		.amdhsa_system_sgpr_workgroup_id_z 1
		.amdhsa_system_sgpr_workgroup_info 0
		.amdhsa_system_vgpr_workitem_id 0
		.amdhsa_next_free_vgpr 18
		.amdhsa_next_free_sgpr 36
		.amdhsa_reserve_vcc 1
		.amdhsa_reserve_flat_scratch 0
		.amdhsa_float_round_mode_32 0
		.amdhsa_float_round_mode_16_64 0
		.amdhsa_float_denorm_mode_32 3
		.amdhsa_float_denorm_mode_16_64 3
		.amdhsa_dx10_clamp 1
		.amdhsa_ieee_mode 1
		.amdhsa_fp16_overflow 0
		.amdhsa_exception_fp_ieee_invalid_op 0
		.amdhsa_exception_fp_denorm_src 0
		.amdhsa_exception_fp_ieee_div_zero 0
		.amdhsa_exception_fp_ieee_overflow 0
		.amdhsa_exception_fp_ieee_underflow 0
		.amdhsa_exception_fp_ieee_inexact 0
		.amdhsa_exception_int_div_zero 0
	.end_amdhsa_kernel
	.section	.text._ZL33flash_attn_stream_k_fixup_generalILi512ELi8ELi4EEvPfPK15HIP_vector_typeIfLj2EEiiiiS1_IjLj3EES5_S5_S5_,"axG",@progbits,_ZL33flash_attn_stream_k_fixup_generalILi512ELi8ELi4EEvPfPK15HIP_vector_typeIfLj2EEiiiiS1_IjLj3EES5_S5_S5_,comdat
.Lfunc_end12:
	.size	_ZL33flash_attn_stream_k_fixup_generalILi512ELi8ELi4EEvPfPK15HIP_vector_typeIfLj2EEiiiiS1_IjLj3EES5_S5_S5_, .Lfunc_end12-_ZL33flash_attn_stream_k_fixup_generalILi512ELi8ELi4EEvPfPK15HIP_vector_typeIfLj2EEiiiiS1_IjLj3EES5_S5_S5_
                                        ; -- End function
	.set _ZL33flash_attn_stream_k_fixup_generalILi512ELi8ELi4EEvPfPK15HIP_vector_typeIfLj2EEiiiiS1_IjLj3EES5_S5_S5_.num_vgpr, 18
	.set _ZL33flash_attn_stream_k_fixup_generalILi512ELi8ELi4EEvPfPK15HIP_vector_typeIfLj2EEiiiiS1_IjLj3EES5_S5_S5_.num_agpr, 0
	.set _ZL33flash_attn_stream_k_fixup_generalILi512ELi8ELi4EEvPfPK15HIP_vector_typeIfLj2EEiiiiS1_IjLj3EES5_S5_S5_.numbered_sgpr, 36
	.set _ZL33flash_attn_stream_k_fixup_generalILi512ELi8ELi4EEvPfPK15HIP_vector_typeIfLj2EEiiiiS1_IjLj3EES5_S5_S5_.num_named_barrier, 0
	.set _ZL33flash_attn_stream_k_fixup_generalILi512ELi8ELi4EEvPfPK15HIP_vector_typeIfLj2EEiiiiS1_IjLj3EES5_S5_S5_.private_seg_size, 0
	.set _ZL33flash_attn_stream_k_fixup_generalILi512ELi8ELi4EEvPfPK15HIP_vector_typeIfLj2EEiiiiS1_IjLj3EES5_S5_S5_.uses_vcc, 1
	.set _ZL33flash_attn_stream_k_fixup_generalILi512ELi8ELi4EEvPfPK15HIP_vector_typeIfLj2EEiiiiS1_IjLj3EES5_S5_S5_.uses_flat_scratch, 0
	.set _ZL33flash_attn_stream_k_fixup_generalILi512ELi8ELi4EEvPfPK15HIP_vector_typeIfLj2EEiiiiS1_IjLj3EES5_S5_S5_.has_dyn_sized_stack, 0
	.set _ZL33flash_attn_stream_k_fixup_generalILi512ELi8ELi4EEvPfPK15HIP_vector_typeIfLj2EEiiiiS1_IjLj3EES5_S5_S5_.has_recursion, 0
	.set _ZL33flash_attn_stream_k_fixup_generalILi512ELi8ELi4EEvPfPK15HIP_vector_typeIfLj2EEiiiiS1_IjLj3EES5_S5_S5_.has_indirect_call, 0
	.section	.AMDGPU.csdata,"",@progbits
; Kernel info:
; codeLenInByte = 2940
; TotalNumSgprs: 40
; NumVgprs: 18
; ScratchSize: 0
; MemoryBound: 0
; FloatMode: 240
; IeeeMode: 1
; LDSByteSize: 0 bytes/workgroup (compile time only)
; SGPRBlocks: 4
; VGPRBlocks: 4
; NumSGPRsForWavesPerEU: 40
; NumVGPRsForWavesPerEU: 18
; Occupancy: 10
; WaveLimiterHint : 0
; COMPUTE_PGM_RSRC2:SCRATCH_EN: 0
; COMPUTE_PGM_RSRC2:USER_SGPR: 6
; COMPUTE_PGM_RSRC2:TRAP_HANDLER: 0
; COMPUTE_PGM_RSRC2:TGID_X_EN: 1
; COMPUTE_PGM_RSRC2:TGID_Y_EN: 1
; COMPUTE_PGM_RSRC2:TGID_Z_EN: 1
; COMPUTE_PGM_RSRC2:TIDIG_COMP_CNT: 0
	.section	.text._ZL15flash_attn_tileILi576ELi512ELi4ELi4ELb0EEvPKcS1_S1_S1_S1_PKiPfP15HIP_vector_typeIfLj2EEffffjfiS5_IjLj3EEiiiiiiiiiiiliiliiiiil,"axG",@progbits,_ZL15flash_attn_tileILi576ELi512ELi4ELi4ELb0EEvPKcS1_S1_S1_S1_PKiPfP15HIP_vector_typeIfLj2EEffffjfiS5_IjLj3EEiiiiiiiiiiiliiliiiiil,comdat
	.globl	_ZL15flash_attn_tileILi576ELi512ELi4ELi4ELb0EEvPKcS1_S1_S1_S1_PKiPfP15HIP_vector_typeIfLj2EEffffjfiS5_IjLj3EEiiiiiiiiiiiliiliiiiil ; -- Begin function _ZL15flash_attn_tileILi576ELi512ELi4ELi4ELb0EEvPKcS1_S1_S1_S1_PKiPfP15HIP_vector_typeIfLj2EEffffjfiS5_IjLj3EEiiiiiiiiiiiliiliiiiil
	.p2align	8
	.type	_ZL15flash_attn_tileILi576ELi512ELi4ELi4ELb0EEvPKcS1_S1_S1_S1_PKiPfP15HIP_vector_typeIfLj2EEffffjfiS5_IjLj3EEiiiiiiiiiiiliiliiiiil,@function
_ZL15flash_attn_tileILi576ELi512ELi4ELi4ELb0EEvPKcS1_S1_S1_S1_PKiPfP15HIP_vector_typeIfLj2EEffffjfiS5_IjLj3EEiiiiiiiiiiiliiliiiiil: ; @_ZL15flash_attn_tileILi576ELi512ELi4ELi4ELb0EEvPKcS1_S1_S1_S1_PKiPfP15HIP_vector_typeIfLj2EEffffjfiS5_IjLj3EEiiiiiiiiiiiliiliiiiil
; %bb.0:
	s_load_dwordx4 s[0:3], s[4:5], 0x5c
	s_load_dwordx2 s[24:25], s[4:5], 0x80
	s_load_dwordx2 s[28:29], s[4:5], 0xb8
	s_mov_b64 s[26:27], 0
	s_waitcnt lgkmcnt(0)
	s_ashr_i32 s9, s3, 31
	s_lshr_b32 s9, s9, 30
	s_add_i32 s9, s3, s9
	s_ashr_i32 s9, s9, 2
	v_cvt_f32_u32_e32 v2, s9
	s_sub_i32 s10, 0, s9
	v_rcp_iflag_f32_e32 v2, v2
	v_mul_f32_e32 v2, 0x4f7ffffe, v2
	v_cvt_u32_f32_e32 v2, v2
	v_readfirstlane_b32 s11, v2
	s_mul_i32 s10, s10, s11
	s_mul_hi_u32 s10, s11, s10
	s_add_i32 s11, s11, s10
	s_mul_hi_u32 s10, s8, s11
	s_mul_i32 s11, s10, s9
	s_sub_i32 s11, s8, s11
	s_add_i32 s12, s10, 1
	s_sub_i32 s13, s11, s9
	s_cmp_ge_u32 s11, s9
	s_cselect_b32 s10, s12, s10
	s_cselect_b32 s11, s13, s11
	s_add_i32 s12, s10, 1
	s_cmp_ge_u32 s11, s9
	s_cselect_b32 s30, s12, s10
	s_abs_i32 s9, s25
	v_cvt_f32_u32_e32 v2, s9
	s_lshl_b32 s8, s8, 2
	s_mul_i32 s12, s30, s3
	s_xor_b32 s10, s3, s25
	v_rcp_iflag_f32_e32 v2, v2
	s_sub_i32 s13, 0, s9
	s_sub_i32 s25, s8, s12
	s_abs_i32 s11, s3
	v_mul_f32_e32 v2, 0x4f7ffffe, v2
	v_cvt_u32_f32_e32 v2, v2
	s_ashr_i32 s10, s10, 31
	v_readfirstlane_b32 s8, v2
	s_mul_i32 s13, s13, s8
	s_mul_hi_u32 s12, s8, s13
	s_add_i32 s8, s8, s12
	s_mul_hi_u32 s8, s11, s8
	s_mul_i32 s12, s8, s9
	s_sub_i32 s11, s11, s12
	s_add_i32 s13, s8, 1
	s_sub_i32 s12, s11, s9
	s_cmp_ge_u32 s11, s9
	s_cselect_b32 s8, s13, s8
	s_cselect_b32 s11, s12, s11
	s_add_i32 s12, s8, 1
	s_cmp_ge_u32 s11, s9
	s_cselect_b32 s8, s12, s8
	s_xor_b32 s8, s8, s10
	s_sub_i32 s33, s8, s10
	s_abs_i32 s31, s33
	v_cvt_f32_u32_e32 v2, s31
	s_load_dwordx16 s[8:23], s[4:5], 0x0
	v_rcp_iflag_f32_e32 v2, v2
	s_waitcnt lgkmcnt(0)
	s_cmp_eq_u64 s[14:15], 0
	v_mul_f32_e32 v2, 0x4f7ffffe, v2
	v_cvt_u32_f32_e32 v2, v2
	v_readfirstlane_b32 s34, v2
	s_cbranch_scc1 .LBB13_2
; %bb.1:
	s_abs_i32 s28, s28
	v_cvt_f32_u32_e32 v2, s28
	s_sub_i32 s37, 0, s28
	s_abs_i32 s36, s30
	s_ashr_i32 s35, s30, 31
	v_rcp_iflag_f32_e32 v2, v2
	s_load_dwordx2 s[26:27], s[4:5], 0xc8
	v_mul_f32_e32 v2, 0x4f7ffffe, v2
	v_cvt_u32_f32_e32 v2, v2
	v_readfirstlane_b32 s38, v2
	s_mul_i32 s37, s37, s38
	s_mul_hi_u32 s37, s38, s37
	s_add_i32 s38, s38, s37
	s_mul_hi_u32 s37, s36, s38
	s_mul_i32 s37, s37, s28
	s_sub_i32 s36, s36, s37
	s_sub_i32 s37, s36, s28
	s_cmp_ge_u32 s36, s28
	s_cselect_b32 s36, s37, s36
	s_sub_i32 s37, s36, s28
	s_cmp_ge_u32 s36, s28
	s_cselect_b32 s28, s37, s36
	s_xor_b32 s28, s28, s35
	s_sub_i32 s28, s28, s35
	s_ashr_i32 s35, s28, 31
	s_waitcnt lgkmcnt(0)
	s_mul_hi_u32 s36, s26, s28
	s_mul_i32 s35, s26, s35
	s_mul_i32 s27, s27, s28
	s_add_i32 s35, s36, s35
	s_add_i32 s35, s35, s27
	s_mul_i32 s26, s26, s28
	s_add_u32 s26, s14, s26
	s_addc_u32 s27, s15, s35
.LBB13_2:
	v_lshrrev_b32_e32 v2, 1, v1
	s_load_dwordx4 s[36:39], s[4:5], 0x70
	v_lshl_add_u32 v12, s6, 2, v2
	v_mul_hi_u32 v2, s0, v12
	v_lshlrev_b32_e32 v5, 1, v1
	v_and_b32_e32 v13, 2, v5
	s_waitcnt lgkmcnt(0)
	s_mul_i32 s0, s30, s38
	v_add_u32_e32 v2, v12, v2
	s_ashr_i32 s15, s0, 31
	v_lshrrev_b32_e32 v2, s1, v2
	s_mul_i32 s14, s25, s37
	s_add_u32 s0, s8, s0
	v_mul_lo_u32 v2, v2, s2
	s_addc_u32 s8, s9, s15
	s_ashr_i32 s9, s14, 31
	s_add_u32 s14, s0, s14
	s_addc_u32 s15, s8, s9
	s_ashr_i32 s9, s37, 31
	s_mov_b32 s8, s37
	s_ashr_i32 s37, s36, 31
	v_sub_u32_e32 v4, v12, v2
	s_lshr_b64 s[0:1], s[36:37], 2
	v_mad_u64_u32 v[2:3], s[0:1], s0, v4, 0
	s_lshr_b32 s0, s37, 2
	v_mul_u32_u24_e32 v15, 0x900, v1
	v_mad_u64_u32 v[6:7], s[0:1], s0, v4, v[3:4]
	s_lshr_b64 s[0:1], s[8:9], 2
	s_lshr_b32 s8, s9, 2
	v_mov_b32_e32 v3, v6
	v_lshlrev_b64 v[2:3], 2, v[2:3]
	v_mov_b32_e32 v6, s15
	v_add_co_u32_e32 v7, vcc, s14, v2
	v_addc_co_u32_e32 v8, vcc, v6, v3, vcc
	v_mul_lo_u32 v9, s8, v13
	v_mad_u64_u32 v[2:3], s[8:9], s0, v13, 0
	v_lshlrev_b32_e32 v6, 4, v0
	v_add_co_u32_e32 v6, vcc, v7, v6
	v_or_b32_e32 v3, v3, v9
	v_lshlrev_b64 v[2:3], 2, v[2:3]
	v_addc_co_u32_e32 v8, vcc, 0, v8, vcc
	v_add_co_u32_e32 v2, vcc, v6, v2
	v_addc_co_u32_e32 v3, vcc, v8, v3, vcc
	global_load_dwordx4 v[16:19], v[2:3], off
	global_load_dwordx4 v[20:23], v[2:3], off offset:512
	global_load_dwordx4 v[24:27], v[2:3], off offset:1024
	;; [unrolled: 1-line block ×3, first 2 shown]
	s_load_dword s14, s[4:5], 0x40
	v_lshlrev_b32_e32 v7, 3, v0
	s_movk_i32 s8, 0x900
	v_mad_u32_u24 v11, v1, s8, v7
	v_cmp_gt_u32_e32 vcc, 16, v0
	s_waitcnt vmcnt(3) lgkmcnt(0)
	v_fma_mixlo_f16 v9, s14, v16, 0
	v_fma_mixlo_f16 v10, s14, v17, 0
	;; [unrolled: 1-line block ×4, first 2 shown]
	s_waitcnt vmcnt(2)
	v_fma_mixlo_f16 v17, s14, v20, 0
	v_fma_mixlo_f16 v18, s14, v21, 0
	;; [unrolled: 1-line block ×4, first 2 shown]
	s_waitcnt vmcnt(1)
	v_fma_mixlo_f16 v21, s14, v24, 0
	v_fma_mixlo_f16 v22, s14, v25, 0
	v_fma_mixlo_f16 v23, s14, v26, 0
	s_waitcnt vmcnt(0)
	v_fma_mixlo_f16 v25, s14, v28, 0
	v_fma_mixlo_f16 v26, s14, v29, 0
	v_lshlrev_b32_e32 v10, 16, v10
	v_and_b32_e32 v9, 0xffff, v9
	v_lshlrev_b32_e32 v16, 16, v16
	v_and_b32_e32 v14, 0xffff, v14
	;; [unrolled: 2-line block ×3, first 2 shown]
	v_fma_mixlo_f16 v24, s14, v27, 0
	v_fma_mixlo_f16 v27, s14, v30, 0
	;; [unrolled: 1-line block ×3, first 2 shown]
	v_lshlrev_b32_e32 v20, 16, v20
	v_and_b32_e32 v19, 0xffff, v19
	v_lshlrev_b32_e32 v22, 16, v22
	v_and_b32_e32 v21, 0xffff, v21
	;; [unrolled: 2-line block ×3, first 2 shown]
	v_or_b32_e32 v9, v10, v9
	v_or3_b32 v10, v16, v14, 0
	v_or_b32_e32 v14, v18, v17
	v_lshlrev_b32_e32 v24, 16, v24
	v_and_b32_e32 v23, 0xffff, v23
	v_lshlrev_b32_e32 v28, 16, v28
	v_and_b32_e32 v27, 0xffff, v27
	v_or3_b32 v17, v20, v19, 0
	v_or_b32_e32 v18, v22, v21
	v_or_b32_e32 v20, v26, v25
	v_or3_b32 v9, 0, 0, v9
	v_or3_b32 v16, 0, 0, v14
	;; [unrolled: 1-line block ×6, first 2 shown]
	ds_write2_b64 v11, v[9:10], v[16:17] offset1:32
	ds_write2_b64 v11, v[18:19], v[20:21] offset0:64 offset1:96
	s_and_saveexec_b64 s[8:9], vcc
	s_cbranch_execz .LBB13_4
; %bb.3:
	global_load_dwordx4 v[16:19], v[2:3], off offset:2048
	s_waitcnt vmcnt(0)
	v_fma_mixlo_f16 v2, s14, v16, 0
	v_fma_mixlo_f16 v3, s14, v17, 0
	;; [unrolled: 1-line block ×4, first 2 shown]
	v_lshlrev_b32_e32 v3, 16, v3
	v_and_b32_e32 v2, 0xffff, v2
	v_lshlrev_b32_e32 v10, 16, v10
	v_and_b32_e32 v9, 0xffff, v9
	v_or_b32_e32 v2, v3, v2
	v_or3_b32 v3, v10, v9, 0
	v_or3_b32 v2, 0, 0, v2
	v_add_u32_e32 v9, v7, v15
	ds_write_b64 v9, v[2:3] offset:1024
.LBB13_4:
	s_or_b64 exec, exec, s[8:9]
	v_or_b32_e32 v5, 1, v5
	v_and_b32_e32 v9, 3, v5
	v_mad_u64_u32 v[2:3], s[8:9], s0, v9, 0
	v_mad_u64_u32 v[9:10], s[0:1], s1, v9, v[3:4]
	v_mov_b32_e32 v3, v9
	v_lshlrev_b64 v[2:3], 2, v[2:3]
	v_add_co_u32_e64 v2, s[0:1], v6, v2
	v_addc_co_u32_e64 v3, s[0:1], v8, v3, s[0:1]
	global_load_dwordx4 v[8:11], v[2:3], off
	global_load_dwordx4 v[16:19], v[2:3], off offset:512
	global_load_dwordx4 v[20:23], v[2:3], off offset:1024
	;; [unrolled: 1-line block ×3, first 2 shown]
	s_movk_i32 s0, 0x480
	v_mad_u32_u24 v6, v5, s0, v7
	s_waitcnt vmcnt(3)
	v_fma_mixlo_f16 v8, s14, v8, 0
	v_fma_mixlo_f16 v9, s14, v9, 0
	v_fma_mixlo_f16 v10, s14, v10, 0
	v_fma_mixlo_f16 v11, s14, v11, 0
	s_waitcnt vmcnt(2)
	v_fma_mixlo_f16 v14, s14, v16, 0
	v_fma_mixlo_f16 v16, s14, v17, 0
	v_fma_mixlo_f16 v17, s14, v18, 0
	v_fma_mixlo_f16 v18, s14, v19, 0
	;; [unrolled: 5-line block ×3, first 2 shown]
	s_waitcnt vmcnt(0)
	v_fma_mixlo_f16 v23, s14, v24, 0
	v_fma_mixlo_f16 v24, s14, v25, 0
	v_lshlrev_b32_e32 v9, 16, v9
	v_and_b32_e32 v8, 0xffff, v8
	v_lshlrev_b32_e32 v11, 16, v11
	v_and_b32_e32 v10, 0xffff, v10
	v_lshlrev_b32_e32 v16, 16, v16
	v_and_b32_e32 v14, 0xffff, v14
	v_fma_mixlo_f16 v25, s14, v26, 0
	v_fma_mixlo_f16 v26, s14, v27, 0
	v_lshlrev_b32_e32 v18, 16, v18
	v_and_b32_e32 v17, 0xffff, v17
	v_lshlrev_b32_e32 v20, 16, v20
	v_and_b32_e32 v19, 0xffff, v19
	;; [unrolled: 2-line block ×3, first 2 shown]
	v_or_b32_e32 v8, v9, v8
	v_or3_b32 v9, v11, v10, 0
	v_or_b32_e32 v10, v16, v14
	v_lshlrev_b32_e32 v22, 16, v22
	v_and_b32_e32 v21, 0xffff, v21
	v_lshlrev_b32_e32 v26, 16, v26
	v_and_b32_e32 v25, 0xffff, v25
	v_or3_b32 v11, v18, v17, 0
	v_or_b32_e32 v14, v20, v19
	v_or_b32_e32 v18, v24, v23
	v_or3_b32 v8, 0, 0, v8
	v_or3_b32 v10, 0, 0, v10
	;; [unrolled: 1-line block ×6, first 2 shown]
	ds_write2_b64 v6, v[8:9], v[10:11] offset1:32
	ds_write2_b64 v6, v[16:17], v[18:19] offset0:64 offset1:96
	s_and_saveexec_b64 s[0:1], vcc
	s_cbranch_execz .LBB13_6
; %bb.5:
	global_load_dwordx4 v[8:11], v[2:3], off offset:2048
	v_mul_u32_u24_e32 v5, 0x480, v5
	v_add_u32_e32 v5, v7, v5
	s_waitcnt vmcnt(0)
	v_fma_mixlo_f16 v2, s14, v8, 0
	v_fma_mixlo_f16 v3, s14, v9, 0
	;; [unrolled: 1-line block ×4, first 2 shown]
	v_lshlrev_b32_e32 v3, 16, v3
	v_and_b32_e32 v2, 0xffff, v2
	v_lshlrev_b32_e32 v8, 16, v8
	v_and_b32_e32 v6, 0xffff, v6
	v_or_b32_e32 v2, v3, v2
	v_or3_b32 v3, v8, v6, 0
	v_or3_b32 v2, 0, 0, v2
	ds_write_b64 v5, v[2:3] offset:1024
.LBB13_6:
	s_or_b64 exec, exec, s[0:1]
	s_cmp_eq_u64 s[18:19], 0
	s_waitcnt lgkmcnt(0)
	s_barrier
	s_cbranch_scc1 .LBB13_8
; %bb.7:
	s_load_dword s0, s[4:5], 0xd0
	s_mov_b32 s1, 0
	s_waitcnt lgkmcnt(0)
	s_mul_i32 s0, s0, s30
	s_add_i32 s0, s0, s6
	s_lshl_b64 s[0:1], s[0:1], 2
	s_add_u32 s0, s18, s0
	s_addc_u32 s1, s19, s1
	s_load_dword s24, s[0:1], 0x0
.LBB13_8:
	s_lshl_b32 s6, s7, 6
	v_lshlrev_b32_e32 v14, 2, v0
	s_waitcnt lgkmcnt(0)
	s_cmp_lt_i32 s6, s24
	v_mbcnt_lo_u32_b32 v2, -1, 0
	s_cbranch_scc1 .LBB13_11
; %bb.9:
	v_mbcnt_hi_u32_b32 v16, -1, v2
	v_and_b32_e32 v3, 0x60, v16
	v_add_u32_e32 v17, 32, v3
	v_xor_b32_e32 v22, 16, v16
	v_xor_b32_e32 v21, 8, v16
	v_xor_b32_e32 v20, 4, v16
	v_xor_b32_e32 v19, 2, v16
	v_xor_b32_e32 v18, 1, v16
	s_cbranch_execz .LBB13_12
; %bb.10:
	v_mov_b32_e32 v49, 0
	v_mov_b32_e32 v23, 0
	;; [unrolled: 1-line block ×20, first 2 shown]
	s_branch .LBB13_14
.LBB13_11:
                                        ; implicit-def: $vgpr16
                                        ; implicit-def: $vgpr17
                                        ; implicit-def: $vgpr22
                                        ; implicit-def: $vgpr21
                                        ; implicit-def: $vgpr20
                                        ; implicit-def: $vgpr19
                                        ; implicit-def: $vgpr18
.LBB13_12:
	s_sub_i32 s0, 0, s31
	s_mul_i32 s0, s0, s34
	s_mul_hi_u32 s0, s34, s0
	s_add_i32 s34, s34, s0
	s_load_dwordx2 s[0:1], s[4:5], 0x8c
	s_load_dwordx4 s[36:39], s[4:5], 0x98
	s_abs_i32 s18, s25
	s_mul_hi_u32 s19, s18, s34
	s_ashr_i32 s28, s25, 31
	s_waitcnt lgkmcnt(0)
	s_ashr_i32 s9, s0, 2
	s_ashr_i32 s0, s30, 31
	s_mul_hi_u32 s34, s36, s30
	s_mul_i32 s35, s36, s0
	s_add_i32 s34, s34, s35
	s_mul_i32 s35, s37, s30
	s_ashr_i32 s33, s33, 31
	s_ashr_i32 s8, s38, 2
	;; [unrolled: 1-line block ×3, first 2 shown]
	s_add_i32 s34, s34, s35
	s_mul_i32 s35, s36, s30
	s_add_u32 s10, s10, s35
	s_addc_u32 s11, s11, s34
	s_xor_b32 s28, s28, s33
	s_mul_i32 s33, s19, s31
	s_sub_i32 s18, s18, s33
	s_add_i32 s33, s19, 1
	s_sub_i32 s34, s18, s31
	s_cmp_ge_u32 s18, s31
	s_cselect_b32 s19, s33, s19
	s_cselect_b32 s18, s34, s18
	s_add_i32 s33, s19, 1
	s_cmp_ge_u32 s18, s31
	s_load_dwordx2 s[14:15], s[4:5], 0xa8
	s_cselect_b32 s18, s33, s19
	s_xor_b32 s18, s18, s28
	s_sub_i32 s18, s18, s28
	s_mul_i32 s1, s18, s1
	s_ashr_i32 s19, s1, 31
	s_add_u32 s10, s10, s1
	s_waitcnt lgkmcnt(0)
	s_mul_hi_u32 s1, s14, s30
	s_mul_i32 s0, s14, s0
	s_addc_u32 s11, s11, s19
	s_add_i32 s0, s1, s0
	s_mul_i32 s1, s15, s30
	s_add_i32 s0, s0, s1
	s_mul_i32 s1, s14, s30
	s_add_u32 s1, s12, s1
	s_mul_i32 s18, s18, s39
	s_addc_u32 s0, s13, s0
	s_ashr_i32 s12, s18, 31
	s_add_u32 s13, s1, s18
	v_lshrrev_b32_e32 v3, 3, v0
	v_and_b32_e32 v11, 28, v14
	s_addc_u32 s12, s0, s12
	v_lshl_add_u32 v3, v1, 2, v3
	v_lshlrev_b32_e32 v5, 2, v11
	s_movk_i32 s0, 0x90
	v_mul_lo_u32 v8, s9, v3
	v_mad_u32_u24 v3, v3, s0, v5
	v_add_u32_e32 v24, 0x4800, v3
	v_add_u32_e32 v25, 0x5a00, v3
	v_mov_b32_e32 v3, 0x4800
	v_mad_u32_u24 v26, v0, s0, v3
	v_mov_b32_e32 v3, 0x6c00
	v_lshl_add_u32 v27, v1, 8, v3
	v_mul_lo_u32 v3, s8, v1
	v_mad_u64_u32 v[5:6], s[0:1], v4, s29, v[0:1]
	v_lshl_add_u32 v16, s9, 5, v8
	v_ashrrev_i32_e32 v4, 31, v3
	v_lshlrev_b64 v[3:4], 2, v[3:4]
	v_mov_b32_e32 v10, s12
	v_add_co_u32_e32 v3, vcc, s13, v3
	v_ashrrev_i32_e32 v9, 31, v8
	v_ashrrev_i32_e32 v17, 31, v16
	v_lshlrev_b32_e32 v6, 2, v14
	v_addc_co_u32_e32 v4, vcc, v10, v4, vcc
	v_lshl_add_u32 v1, v1, 10, v6
	v_or_b32_e32 v30, 0x4800, v7
	v_add_co_u32_e32 v31, vcc, v3, v6
	v_lshlrev_b64 v[6:7], 2, v[8:9]
	v_lshlrev_b64 v[8:9], 2, v[16:17]
	v_mbcnt_hi_u32_b32 v16, -1, v2
	v_add_u32_e32 v28, 0x4800, v1
	v_add_u32_e32 v29, 0x4a00, v1
	s_add_u32 s0, s4, 0xd0
	v_and_b32_e32 v1, 0x60, v16
	v_mov_b32_e32 v41, 0
	s_addc_u32 s1, s5, 0
	v_addc_co_u32_e32 v32, vcc, 0, v4, vcc
	v_mov_b32_e32 v10, 0xfeffffff
	v_lshlrev_b32_e32 v33, 2, v11
	v_add_u32_e32 v17, 32, v1
	v_xor_b32_e32 v22, 16, v16
	v_xor_b32_e32 v21, 8, v16
	;; [unrolled: 1-line block ×5, first 2 shown]
	v_mov_b32_e32 v34, s27
	s_mov_b32 s12, 0x3fb8aa3b
	s_mov_b32 s13, 0xc2ce8ed0
	;; [unrolled: 1-line block ×3, first 2 shown]
	v_mov_b32_e32 v35, 0x7f800000
	s_mov_b32 s15, 0x10001
	v_add_u32_e32 v36, v27, v14
	v_add_u32_e32 v37, 0x800, v30
	;; [unrolled: 1-line block ×4, first 2 shown]
	v_mov_b32_e32 v43, 0
	v_mov_b32_e32 v45, 0
	;; [unrolled: 1-line block ×18, first 2 shown]
.LBB13_13:                              ; =>This Inner Loop Header: Depth=1
	s_mul_hi_i32 s19, s6, s9
	s_mul_i32 s18, s6, s9
	s_lshl_b64 s[18:19], s[18:19], 2
	s_add_u32 s18, s10, s18
	s_addc_u32 s19, s11, s19
	v_add_co_u32_e32 v1, vcc, s18, v6
	v_mov_b32_e32 v2, s19
	v_addc_co_u32_e32 v2, vcc, v2, v7, vcc
	v_add_co_u32_e32 v1, vcc, v1, v33
	v_addc_co_u32_e32 v2, vcc, 0, v2, vcc
	global_load_dwordx4 v[59:62], v[1:2], off
	v_add_co_u32_e32 v3, vcc, s18, v8
	v_mov_b32_e32 v4, s19
	v_addc_co_u32_e32 v4, vcc, v4, v9, vcc
	v_add_co_u32_e32 v3, vcc, v3, v33
	v_addc_co_u32_e32 v4, vcc, 0, v4, vcc
	v_mov_b32_e32 v58, v40
	v_mov_b32_e32 v40, v10
	;; [unrolled: 1-line block ×5, first 2 shown]
	v_cmp_lt_i32_e32 vcc, v22, v17
	s_mul_hi_i32 s19, s6, s8
	s_mul_i32 s18, s6, s8
	s_lshl_b64 s[18:19], s[18:19], 2
	s_waitcnt vmcnt(0)
	ds_write_b128 v24, v[59:62]
	global_load_dwordx4 v[59:62], v[3:4], off
	s_waitcnt vmcnt(0)
	ds_write_b128 v25, v[59:62]
	s_waitcnt lgkmcnt(0)
	s_barrier
	ds_read_b128 v[59:62], v26
	ds_read_b128 v[63:66], v26 offset:4608
	ds_read_b128 v[67:70], v15
	ds_read_b128 v[71:74], v15 offset:1152
	s_waitcnt lgkmcnt(1)
	;;#ASMSTART
	v_dot2_f32_f16 v10, v59, v67, v10
	;;#ASMEND
	;;#ASMSTART
	v_dot2_f32_f16 v10, v60, v68, v10
	;;#ASMEND
	;;#ASMSTART
	v_dot2_f32_f16 v10, v61, v69, v10
	;;#ASMEND
	;;#ASMSTART
	v_dot2_f32_f16 v10, v62, v70, v10
	;;#ASMEND
	s_waitcnt lgkmcnt(0)
	;;#ASMSTART
	v_dot2_f32_f16 v11, v59, v71, v11
	;;#ASMEND
	;;#ASMSTART
	v_dot2_f32_f16 v11, v60, v72, v11
	;;#ASMEND
	;; [unrolled: 3-line block ×3, first 2 shown]
	v_mov_b32_e32 v60, 0
	;;#ASMSTART
	v_dot2_f32_f16 v11, v62, v74, v11
	;;#ASMEND
	;;#ASMSTART
	v_dot2_f32_f16 v60, v63, v67, v60
	;;#ASMEND
	;;#ASMSTART
	v_dot2_f32_f16 v60, v64, v68, v60
	;;#ASMEND
	;;#ASMSTART
	v_dot2_f32_f16 v60, v65, v69, v60
	;;#ASMEND
	v_mov_b32_e32 v59, 0
	;;#ASMSTART
	v_dot2_f32_f16 v60, v66, v70, v60
	;;#ASMEND
	;;#ASMSTART
	v_dot2_f32_f16 v59, v63, v71, v59
	;;#ASMEND
	;;#ASMSTART
	v_dot2_f32_f16 v59, v64, v72, v59
	;;#ASMEND
	;;#ASMSTART
	v_dot2_f32_f16 v59, v65, v73, v59
	;;#ASMEND
	;;#ASMSTART
	v_dot2_f32_f16 v59, v66, v74, v59
	;;#ASMEND
	ds_read_b128 v[61:64], v26 offset:16
	ds_read_b128 v[65:68], v26 offset:4624
	ds_read_b128 v[69:72], v15 offset:16
	ds_read_b128 v[73:76], v15 offset:1168
	s_waitcnt lgkmcnt(1)
	;;#ASMSTART
	v_dot2_f32_f16 v10, v61, v69, v10
	;;#ASMEND
	;;#ASMSTART
	v_dot2_f32_f16 v10, v62, v70, v10
	;;#ASMEND
	;;#ASMSTART
	v_dot2_f32_f16 v10, v63, v71, v10
	;;#ASMEND
	;;#ASMSTART
	v_dot2_f32_f16 v10, v64, v72, v10
	;;#ASMEND
	s_waitcnt lgkmcnt(0)
	;;#ASMSTART
	v_dot2_f32_f16 v11, v61, v73, v11
	;;#ASMEND
	;;#ASMSTART
	v_dot2_f32_f16 v11, v62, v74, v11
	;;#ASMEND
	;;#ASMSTART
	v_dot2_f32_f16 v11, v63, v75, v11
	;;#ASMEND
	;;#ASMSTART
	v_dot2_f32_f16 v11, v64, v76, v11
	;;#ASMEND
	;;#ASMSTART
	v_dot2_f32_f16 v60, v65, v69, v60
	;;#ASMEND
	;;#ASMSTART
	v_dot2_f32_f16 v60, v66, v70, v60
	;;#ASMEND
	;;#ASMSTART
	v_dot2_f32_f16 v60, v67, v71, v60
	;;#ASMEND
	;;#ASMSTART
	v_dot2_f32_f16 v60, v68, v72, v60
	;;#ASMEND
	;;#ASMSTART
	v_dot2_f32_f16 v59, v65, v73, v59
	;;#ASMEND
	;;#ASMSTART
	v_dot2_f32_f16 v59, v66, v74, v59
	;;#ASMEND
	;;#ASMSTART
	v_dot2_f32_f16 v59, v67, v75, v59
	;;#ASMEND
	;;#ASMSTART
	v_dot2_f32_f16 v59, v68, v76, v59
	;;#ASMEND
	ds_read_b128 v[61:64], v26 offset:32
	ds_read_b128 v[65:68], v26 offset:4640
	ds_read_b128 v[69:72], v15 offset:32
	ds_read_b128 v[73:76], v15 offset:1184
	s_waitcnt lgkmcnt(1)
	;;#ASMSTART
	v_dot2_f32_f16 v10, v61, v69, v10
	;;#ASMEND
	;;#ASMSTART
	v_dot2_f32_f16 v10, v62, v70, v10
	;;#ASMEND
	;;#ASMSTART
	v_dot2_f32_f16 v10, v63, v71, v10
	;;#ASMEND
	;;#ASMSTART
	v_dot2_f32_f16 v10, v64, v72, v10
	;;#ASMEND
	s_waitcnt lgkmcnt(0)
	;;#ASMSTART
	v_dot2_f32_f16 v11, v61, v73, v11
	;;#ASMEND
	;;#ASMSTART
	v_dot2_f32_f16 v11, v62, v74, v11
	;;#ASMEND
	;;#ASMSTART
	v_dot2_f32_f16 v11, v63, v75, v11
	;;#ASMEND
	;;#ASMSTART
	v_dot2_f32_f16 v11, v64, v76, v11
	;;#ASMEND
	;;#ASMSTART
	v_dot2_f32_f16 v60, v65, v69, v60
	;;#ASMEND
	;;#ASMSTART
	v_dot2_f32_f16 v60, v66, v70, v60
	;;#ASMEND
	;;#ASMSTART
	v_dot2_f32_f16 v60, v67, v71, v60
	;;#ASMEND
	;; [unrolled: 54-line block ×7, first 2 shown]
	;;#ASMSTART
	v_dot2_f32_f16 v60, v68, v72, v60
	;;#ASMEND
	;;#ASMSTART
	v_dot2_f32_f16 v59, v65, v73, v59
	;;#ASMEND
	;; [unrolled: 3-line block ×5, first 2 shown]
	s_barrier
	global_load_dwordx4 v[61:64], v[1:2], off offset:128
	s_waitcnt vmcnt(0)
	ds_write_b128 v24, v[61:64]
	global_load_dwordx4 v[61:64], v[3:4], off offset:128
	s_waitcnt vmcnt(0)
	ds_write_b128 v25, v[61:64]
	s_waitcnt lgkmcnt(0)
	s_barrier
	ds_read_b128 v[61:64], v26
	ds_read_b128 v[65:68], v26 offset:4608
	ds_read_b128 v[69:72], v15 offset:128
	ds_read_b128 v[73:76], v15 offset:1280
	s_waitcnt lgkmcnt(1)
	;;#ASMSTART
	v_dot2_f32_f16 v10, v61, v69, v10
	;;#ASMEND
	;;#ASMSTART
	v_dot2_f32_f16 v10, v62, v70, v10
	;;#ASMEND
	;;#ASMSTART
	v_dot2_f32_f16 v10, v63, v71, v10
	;;#ASMEND
	;;#ASMSTART
	v_dot2_f32_f16 v10, v64, v72, v10
	;;#ASMEND
	s_waitcnt lgkmcnt(0)
	;;#ASMSTART
	v_dot2_f32_f16 v11, v61, v73, v11
	;;#ASMEND
	;;#ASMSTART
	v_dot2_f32_f16 v11, v62, v74, v11
	;;#ASMEND
	;;#ASMSTART
	v_dot2_f32_f16 v11, v63, v75, v11
	;;#ASMEND
	;;#ASMSTART
	v_dot2_f32_f16 v11, v64, v76, v11
	;;#ASMEND
	;;#ASMSTART
	v_dot2_f32_f16 v60, v65, v69, v60
	;;#ASMEND
	;;#ASMSTART
	v_dot2_f32_f16 v60, v66, v70, v60
	;;#ASMEND
	;;#ASMSTART
	v_dot2_f32_f16 v60, v67, v71, v60
	;;#ASMEND
	;;#ASMSTART
	v_dot2_f32_f16 v60, v68, v72, v60
	;;#ASMEND
	;;#ASMSTART
	v_dot2_f32_f16 v59, v65, v73, v59
	;;#ASMEND
	;;#ASMSTART
	v_dot2_f32_f16 v59, v66, v74, v59
	;;#ASMEND
	;;#ASMSTART
	v_dot2_f32_f16 v59, v67, v75, v59
	;;#ASMEND
	;;#ASMSTART
	v_dot2_f32_f16 v59, v68, v76, v59
	;;#ASMEND
	ds_read_b128 v[61:64], v26 offset:16
	ds_read_b128 v[65:68], v26 offset:4624
	ds_read_b128 v[69:72], v15 offset:144
	ds_read_b128 v[73:76], v15 offset:1296
	s_waitcnt lgkmcnt(1)
	;;#ASMSTART
	v_dot2_f32_f16 v10, v61, v69, v10
	;;#ASMEND
	;;#ASMSTART
	v_dot2_f32_f16 v10, v62, v70, v10
	;;#ASMEND
	;;#ASMSTART
	v_dot2_f32_f16 v10, v63, v71, v10
	;;#ASMEND
	;;#ASMSTART
	v_dot2_f32_f16 v10, v64, v72, v10
	;;#ASMEND
	s_waitcnt lgkmcnt(0)
	;;#ASMSTART
	v_dot2_f32_f16 v11, v61, v73, v11
	;;#ASMEND
	;;#ASMSTART
	v_dot2_f32_f16 v11, v62, v74, v11
	;;#ASMEND
	;;#ASMSTART
	v_dot2_f32_f16 v11, v63, v75, v11
	;;#ASMEND
	;;#ASMSTART
	v_dot2_f32_f16 v11, v64, v76, v11
	;;#ASMEND
	;;#ASMSTART
	v_dot2_f32_f16 v60, v65, v69, v60
	;;#ASMEND
	;;#ASMSTART
	v_dot2_f32_f16 v60, v66, v70, v60
	;;#ASMEND
	;;#ASMSTART
	v_dot2_f32_f16 v60, v67, v71, v60
	;;#ASMEND
	;;#ASMSTART
	v_dot2_f32_f16 v60, v68, v72, v60
	;;#ASMEND
	;;#ASMSTART
	v_dot2_f32_f16 v59, v65, v73, v59
	;;#ASMEND
	;;#ASMSTART
	v_dot2_f32_f16 v59, v66, v74, v59
	;;#ASMEND
	;;#ASMSTART
	v_dot2_f32_f16 v59, v67, v75, v59
	;;#ASMEND
	;;#ASMSTART
	v_dot2_f32_f16 v59, v68, v76, v59
	;;#ASMEND
	ds_read_b128 v[61:64], v26 offset:32
	;; [unrolled: 54-line block ×7, first 2 shown]
	ds_read_b128 v[65:68], v26 offset:4720
	ds_read_b128 v[69:72], v15 offset:240
	;; [unrolled: 1-line block ×3, first 2 shown]
	s_waitcnt lgkmcnt(1)
	;;#ASMSTART
	v_dot2_f32_f16 v10, v61, v69, v10
	;;#ASMEND
	;;#ASMSTART
	v_dot2_f32_f16 v10, v62, v70, v10
	;;#ASMEND
	;; [unrolled: 3-line block ×4, first 2 shown]
	s_waitcnt lgkmcnt(0)
	;;#ASMSTART
	v_dot2_f32_f16 v11, v61, v73, v11
	;;#ASMEND
	;;#ASMSTART
	v_dot2_f32_f16 v11, v62, v74, v11
	;;#ASMEND
	;;#ASMSTART
	v_dot2_f32_f16 v11, v63, v75, v11
	;;#ASMEND
	;;#ASMSTART
	v_dot2_f32_f16 v11, v64, v76, v11
	;;#ASMEND
	;;#ASMSTART
	v_dot2_f32_f16 v60, v65, v69, v60
	;;#ASMEND
	;;#ASMSTART
	v_dot2_f32_f16 v60, v66, v70, v60
	;;#ASMEND
	;;#ASMSTART
	v_dot2_f32_f16 v60, v67, v71, v60
	;;#ASMEND
	;;#ASMSTART
	v_dot2_f32_f16 v60, v68, v72, v60
	;;#ASMEND
	;;#ASMSTART
	v_dot2_f32_f16 v59, v65, v73, v59
	;;#ASMEND
	;;#ASMSTART
	v_dot2_f32_f16 v59, v66, v74, v59
	;;#ASMEND
	;;#ASMSTART
	v_dot2_f32_f16 v59, v67, v75, v59
	;;#ASMEND
	;;#ASMSTART
	v_dot2_f32_f16 v59, v68, v76, v59
	;;#ASMEND
	s_barrier
	global_load_dwordx4 v[61:64], v[1:2], off offset:256
	s_waitcnt vmcnt(0)
	ds_write_b128 v24, v[61:64]
	global_load_dwordx4 v[61:64], v[3:4], off offset:256
	s_waitcnt vmcnt(0)
	ds_write_b128 v25, v[61:64]
	s_waitcnt lgkmcnt(0)
	s_barrier
	ds_read_b128 v[61:64], v26
	ds_read_b128 v[65:68], v26 offset:4608
	ds_read_b128 v[69:72], v15 offset:256
	ds_read_b128 v[73:76], v15 offset:1408
	s_waitcnt lgkmcnt(1)
	;;#ASMSTART
	v_dot2_f32_f16 v10, v61, v69, v10
	;;#ASMEND
	;;#ASMSTART
	v_dot2_f32_f16 v10, v62, v70, v10
	;;#ASMEND
	;;#ASMSTART
	v_dot2_f32_f16 v10, v63, v71, v10
	;;#ASMEND
	;;#ASMSTART
	v_dot2_f32_f16 v10, v64, v72, v10
	;;#ASMEND
	s_waitcnt lgkmcnt(0)
	;;#ASMSTART
	v_dot2_f32_f16 v11, v61, v73, v11
	;;#ASMEND
	;;#ASMSTART
	v_dot2_f32_f16 v11, v62, v74, v11
	;;#ASMEND
	;;#ASMSTART
	v_dot2_f32_f16 v11, v63, v75, v11
	;;#ASMEND
	;;#ASMSTART
	v_dot2_f32_f16 v11, v64, v76, v11
	;;#ASMEND
	;;#ASMSTART
	v_dot2_f32_f16 v60, v65, v69, v60
	;;#ASMEND
	;;#ASMSTART
	v_dot2_f32_f16 v60, v66, v70, v60
	;;#ASMEND
	;;#ASMSTART
	v_dot2_f32_f16 v60, v67, v71, v60
	;;#ASMEND
	;;#ASMSTART
	v_dot2_f32_f16 v60, v68, v72, v60
	;;#ASMEND
	;;#ASMSTART
	v_dot2_f32_f16 v59, v65, v73, v59
	;;#ASMEND
	;;#ASMSTART
	v_dot2_f32_f16 v59, v66, v74, v59
	;;#ASMEND
	;;#ASMSTART
	v_dot2_f32_f16 v59, v67, v75, v59
	;;#ASMEND
	;;#ASMSTART
	v_dot2_f32_f16 v59, v68, v76, v59
	;;#ASMEND
	ds_read_b128 v[61:64], v26 offset:16
	ds_read_b128 v[65:68], v26 offset:4624
	ds_read_b128 v[69:72], v15 offset:272
	ds_read_b128 v[73:76], v15 offset:1424
	s_waitcnt lgkmcnt(1)
	;;#ASMSTART
	v_dot2_f32_f16 v10, v61, v69, v10
	;;#ASMEND
	;;#ASMSTART
	v_dot2_f32_f16 v10, v62, v70, v10
	;;#ASMEND
	;;#ASMSTART
	v_dot2_f32_f16 v10, v63, v71, v10
	;;#ASMEND
	;;#ASMSTART
	v_dot2_f32_f16 v10, v64, v72, v10
	;;#ASMEND
	s_waitcnt lgkmcnt(0)
	;;#ASMSTART
	v_dot2_f32_f16 v11, v61, v73, v11
	;;#ASMEND
	;;#ASMSTART
	v_dot2_f32_f16 v11, v62, v74, v11
	;;#ASMEND
	;;#ASMSTART
	v_dot2_f32_f16 v11, v63, v75, v11
	;;#ASMEND
	;;#ASMSTART
	v_dot2_f32_f16 v11, v64, v76, v11
	;;#ASMEND
	;;#ASMSTART
	v_dot2_f32_f16 v60, v65, v69, v60
	;;#ASMEND
	;;#ASMSTART
	v_dot2_f32_f16 v60, v66, v70, v60
	;;#ASMEND
	;;#ASMSTART
	v_dot2_f32_f16 v60, v67, v71, v60
	;;#ASMEND
	;;#ASMSTART
	v_dot2_f32_f16 v60, v68, v72, v60
	;;#ASMEND
	;;#ASMSTART
	v_dot2_f32_f16 v59, v65, v73, v59
	;;#ASMEND
	;;#ASMSTART
	v_dot2_f32_f16 v59, v66, v74, v59
	;;#ASMEND
	;;#ASMSTART
	v_dot2_f32_f16 v59, v67, v75, v59
	;;#ASMEND
	;;#ASMSTART
	v_dot2_f32_f16 v59, v68, v76, v59
	;;#ASMEND
	ds_read_b128 v[61:64], v26 offset:32
	;; [unrolled: 54-line block ×7, first 2 shown]
	ds_read_b128 v[65:68], v26 offset:4720
	ds_read_b128 v[69:72], v15 offset:368
	;; [unrolled: 1-line block ×3, first 2 shown]
	s_waitcnt lgkmcnt(1)
	;;#ASMSTART
	v_dot2_f32_f16 v10, v61, v69, v10
	;;#ASMEND
	;;#ASMSTART
	v_dot2_f32_f16 v10, v62, v70, v10
	;;#ASMEND
	;;#ASMSTART
	v_dot2_f32_f16 v10, v63, v71, v10
	;;#ASMEND
	;;#ASMSTART
	v_dot2_f32_f16 v10, v64, v72, v10
	;;#ASMEND
	s_waitcnt lgkmcnt(0)
	;;#ASMSTART
	v_dot2_f32_f16 v11, v61, v73, v11
	;;#ASMEND
	;;#ASMSTART
	v_dot2_f32_f16 v11, v62, v74, v11
	;;#ASMEND
	;; [unrolled: 3-line block ×12, first 2 shown]
	s_barrier
	global_load_dwordx4 v[61:64], v[1:2], off offset:384
	s_waitcnt vmcnt(0)
	ds_write_b128 v24, v[61:64]
	global_load_dwordx4 v[61:64], v[3:4], off offset:384
	s_waitcnt vmcnt(0)
	ds_write_b128 v25, v[61:64]
	s_waitcnt lgkmcnt(0)
	s_barrier
	ds_read_b128 v[61:64], v26
	ds_read_b128 v[65:68], v26 offset:4608
	ds_read_b128 v[69:72], v15 offset:384
	ds_read_b128 v[73:76], v15 offset:1536
	s_waitcnt lgkmcnt(1)
	;;#ASMSTART
	v_dot2_f32_f16 v10, v61, v69, v10
	;;#ASMEND
	;;#ASMSTART
	v_dot2_f32_f16 v10, v62, v70, v10
	;;#ASMEND
	;;#ASMSTART
	v_dot2_f32_f16 v10, v63, v71, v10
	;;#ASMEND
	;;#ASMSTART
	v_dot2_f32_f16 v10, v64, v72, v10
	;;#ASMEND
	s_waitcnt lgkmcnt(0)
	;;#ASMSTART
	v_dot2_f32_f16 v11, v61, v73, v11
	;;#ASMEND
	;;#ASMSTART
	v_dot2_f32_f16 v11, v62, v74, v11
	;;#ASMEND
	;;#ASMSTART
	v_dot2_f32_f16 v11, v63, v75, v11
	;;#ASMEND
	;;#ASMSTART
	v_dot2_f32_f16 v11, v64, v76, v11
	;;#ASMEND
	;;#ASMSTART
	v_dot2_f32_f16 v60, v65, v69, v60
	;;#ASMEND
	;;#ASMSTART
	v_dot2_f32_f16 v60, v66, v70, v60
	;;#ASMEND
	;;#ASMSTART
	v_dot2_f32_f16 v60, v67, v71, v60
	;;#ASMEND
	;;#ASMSTART
	v_dot2_f32_f16 v60, v68, v72, v60
	;;#ASMEND
	;;#ASMSTART
	v_dot2_f32_f16 v59, v65, v73, v59
	;;#ASMEND
	;;#ASMSTART
	v_dot2_f32_f16 v59, v66, v74, v59
	;;#ASMEND
	;;#ASMSTART
	v_dot2_f32_f16 v59, v67, v75, v59
	;;#ASMEND
	;;#ASMSTART
	v_dot2_f32_f16 v59, v68, v76, v59
	;;#ASMEND
	ds_read_b128 v[61:64], v26 offset:16
	ds_read_b128 v[65:68], v26 offset:4624
	ds_read_b128 v[69:72], v15 offset:400
	ds_read_b128 v[73:76], v15 offset:1552
	s_waitcnt lgkmcnt(1)
	;;#ASMSTART
	v_dot2_f32_f16 v10, v61, v69, v10
	;;#ASMEND
	;;#ASMSTART
	v_dot2_f32_f16 v10, v62, v70, v10
	;;#ASMEND
	;;#ASMSTART
	v_dot2_f32_f16 v10, v63, v71, v10
	;;#ASMEND
	;;#ASMSTART
	v_dot2_f32_f16 v10, v64, v72, v10
	;;#ASMEND
	s_waitcnt lgkmcnt(0)
	;;#ASMSTART
	v_dot2_f32_f16 v11, v61, v73, v11
	;;#ASMEND
	;;#ASMSTART
	v_dot2_f32_f16 v11, v62, v74, v11
	;;#ASMEND
	;;#ASMSTART
	v_dot2_f32_f16 v11, v63, v75, v11
	;;#ASMEND
	;;#ASMSTART
	v_dot2_f32_f16 v11, v64, v76, v11
	;;#ASMEND
	;;#ASMSTART
	v_dot2_f32_f16 v60, v65, v69, v60
	;;#ASMEND
	;;#ASMSTART
	v_dot2_f32_f16 v60, v66, v70, v60
	;;#ASMEND
	;;#ASMSTART
	v_dot2_f32_f16 v60, v67, v71, v60
	;;#ASMEND
	;;#ASMSTART
	v_dot2_f32_f16 v60, v68, v72, v60
	;;#ASMEND
	;;#ASMSTART
	v_dot2_f32_f16 v59, v65, v73, v59
	;;#ASMEND
	;;#ASMSTART
	v_dot2_f32_f16 v59, v66, v74, v59
	;;#ASMEND
	;;#ASMSTART
	v_dot2_f32_f16 v59, v67, v75, v59
	;;#ASMEND
	;;#ASMSTART
	v_dot2_f32_f16 v59, v68, v76, v59
	;;#ASMEND
	ds_read_b128 v[61:64], v26 offset:32
	;; [unrolled: 54-line block ×7, first 2 shown]
	ds_read_b128 v[65:68], v26 offset:4720
	ds_read_b128 v[69:72], v15 offset:496
	;; [unrolled: 1-line block ×3, first 2 shown]
	s_waitcnt lgkmcnt(1)
	;;#ASMSTART
	v_dot2_f32_f16 v10, v61, v69, v10
	;;#ASMEND
	;;#ASMSTART
	v_dot2_f32_f16 v10, v62, v70, v10
	;;#ASMEND
	;; [unrolled: 3-line block ×4, first 2 shown]
	s_waitcnt lgkmcnt(0)
	;;#ASMSTART
	v_dot2_f32_f16 v11, v61, v73, v11
	;;#ASMEND
	;;#ASMSTART
	v_dot2_f32_f16 v11, v62, v74, v11
	;;#ASMEND
	;; [unrolled: 3-line block ×12, first 2 shown]
	s_barrier
	global_load_dwordx4 v[61:64], v[1:2], off offset:512
	s_waitcnt vmcnt(0)
	ds_write_b128 v24, v[61:64]
	global_load_dwordx4 v[61:64], v[3:4], off offset:512
	s_waitcnt vmcnt(0)
	ds_write_b128 v25, v[61:64]
	s_waitcnt lgkmcnt(0)
	s_barrier
	ds_read_b128 v[61:64], v26
	ds_read_b128 v[65:68], v26 offset:4608
	ds_read_b128 v[69:72], v15 offset:512
	ds_read_b128 v[73:76], v15 offset:1664
	s_waitcnt lgkmcnt(1)
	;;#ASMSTART
	v_dot2_f32_f16 v10, v61, v69, v10
	;;#ASMEND
	;;#ASMSTART
	v_dot2_f32_f16 v10, v62, v70, v10
	;;#ASMEND
	;;#ASMSTART
	v_dot2_f32_f16 v10, v63, v71, v10
	;;#ASMEND
	;;#ASMSTART
	v_dot2_f32_f16 v10, v64, v72, v10
	;;#ASMEND
	s_waitcnt lgkmcnt(0)
	;;#ASMSTART
	v_dot2_f32_f16 v11, v61, v73, v11
	;;#ASMEND
	;;#ASMSTART
	v_dot2_f32_f16 v11, v62, v74, v11
	;;#ASMEND
	;;#ASMSTART
	v_dot2_f32_f16 v11, v63, v75, v11
	;;#ASMEND
	;;#ASMSTART
	v_dot2_f32_f16 v11, v64, v76, v11
	;;#ASMEND
	;;#ASMSTART
	v_dot2_f32_f16 v60, v65, v69, v60
	;;#ASMEND
	;;#ASMSTART
	v_dot2_f32_f16 v60, v66, v70, v60
	;;#ASMEND
	;;#ASMSTART
	v_dot2_f32_f16 v60, v67, v71, v60
	;;#ASMEND
	;;#ASMSTART
	v_dot2_f32_f16 v60, v68, v72, v60
	;;#ASMEND
	;;#ASMSTART
	v_dot2_f32_f16 v59, v65, v73, v59
	;;#ASMEND
	;;#ASMSTART
	v_dot2_f32_f16 v59, v66, v74, v59
	;;#ASMEND
	;;#ASMSTART
	v_dot2_f32_f16 v59, v67, v75, v59
	;;#ASMEND
	;;#ASMSTART
	v_dot2_f32_f16 v59, v68, v76, v59
	;;#ASMEND
	ds_read_b128 v[61:64], v26 offset:16
	ds_read_b128 v[65:68], v26 offset:4624
	ds_read_b128 v[69:72], v15 offset:528
	ds_read_b128 v[73:76], v15 offset:1680
	s_waitcnt lgkmcnt(1)
	;;#ASMSTART
	v_dot2_f32_f16 v10, v61, v69, v10
	;;#ASMEND
	;;#ASMSTART
	v_dot2_f32_f16 v10, v62, v70, v10
	;;#ASMEND
	;;#ASMSTART
	v_dot2_f32_f16 v10, v63, v71, v10
	;;#ASMEND
	;;#ASMSTART
	v_dot2_f32_f16 v10, v64, v72, v10
	;;#ASMEND
	s_waitcnt lgkmcnt(0)
	;;#ASMSTART
	v_dot2_f32_f16 v11, v61, v73, v11
	;;#ASMEND
	;;#ASMSTART
	v_dot2_f32_f16 v11, v62, v74, v11
	;;#ASMEND
	;;#ASMSTART
	v_dot2_f32_f16 v11, v63, v75, v11
	;;#ASMEND
	;;#ASMSTART
	v_dot2_f32_f16 v11, v64, v76, v11
	;;#ASMEND
	;;#ASMSTART
	v_dot2_f32_f16 v60, v65, v69, v60
	;;#ASMEND
	;;#ASMSTART
	v_dot2_f32_f16 v60, v66, v70, v60
	;;#ASMEND
	;;#ASMSTART
	v_dot2_f32_f16 v60, v67, v71, v60
	;;#ASMEND
	;;#ASMSTART
	v_dot2_f32_f16 v60, v68, v72, v60
	;;#ASMEND
	;;#ASMSTART
	v_dot2_f32_f16 v59, v65, v73, v59
	;;#ASMEND
	;;#ASMSTART
	v_dot2_f32_f16 v59, v66, v74, v59
	;;#ASMEND
	;;#ASMSTART
	v_dot2_f32_f16 v59, v67, v75, v59
	;;#ASMEND
	;;#ASMSTART
	v_dot2_f32_f16 v59, v68, v76, v59
	;;#ASMEND
	ds_read_b128 v[61:64], v26 offset:32
	;; [unrolled: 54-line block ×7, first 2 shown]
	ds_read_b128 v[65:68], v26 offset:4720
	ds_read_b128 v[69:72], v15 offset:624
	;; [unrolled: 1-line block ×3, first 2 shown]
	s_waitcnt lgkmcnt(1)
	;;#ASMSTART
	v_dot2_f32_f16 v10, v61, v69, v10
	;;#ASMEND
	;;#ASMSTART
	v_dot2_f32_f16 v10, v62, v70, v10
	;;#ASMEND
	;; [unrolled: 3-line block ×4, first 2 shown]
	s_waitcnt lgkmcnt(0)
	;;#ASMSTART
	v_dot2_f32_f16 v11, v61, v73, v11
	;;#ASMEND
	;;#ASMSTART
	v_dot2_f32_f16 v11, v62, v74, v11
	;;#ASMEND
	;; [unrolled: 3-line block ×12, first 2 shown]
	s_barrier
	global_load_dwordx4 v[61:64], v[1:2], off offset:640
	s_waitcnt vmcnt(0)
	ds_write_b128 v24, v[61:64]
	global_load_dwordx4 v[61:64], v[3:4], off offset:640
	s_waitcnt vmcnt(0)
	ds_write_b128 v25, v[61:64]
	s_waitcnt lgkmcnt(0)
	s_barrier
	ds_read_b128 v[61:64], v26
	ds_read_b128 v[65:68], v26 offset:4608
	ds_read_b128 v[69:72], v15 offset:640
	ds_read_b128 v[73:76], v15 offset:1792
	s_waitcnt lgkmcnt(1)
	;;#ASMSTART
	v_dot2_f32_f16 v10, v61, v69, v10
	;;#ASMEND
	;;#ASMSTART
	v_dot2_f32_f16 v10, v62, v70, v10
	;;#ASMEND
	;;#ASMSTART
	v_dot2_f32_f16 v10, v63, v71, v10
	;;#ASMEND
	;;#ASMSTART
	v_dot2_f32_f16 v10, v64, v72, v10
	;;#ASMEND
	s_waitcnt lgkmcnt(0)
	;;#ASMSTART
	v_dot2_f32_f16 v11, v61, v73, v11
	;;#ASMEND
	;;#ASMSTART
	v_dot2_f32_f16 v11, v62, v74, v11
	;;#ASMEND
	;;#ASMSTART
	v_dot2_f32_f16 v11, v63, v75, v11
	;;#ASMEND
	;;#ASMSTART
	v_dot2_f32_f16 v11, v64, v76, v11
	;;#ASMEND
	;;#ASMSTART
	v_dot2_f32_f16 v60, v65, v69, v60
	;;#ASMEND
	;;#ASMSTART
	v_dot2_f32_f16 v60, v66, v70, v60
	;;#ASMEND
	;;#ASMSTART
	v_dot2_f32_f16 v60, v67, v71, v60
	;;#ASMEND
	;;#ASMSTART
	v_dot2_f32_f16 v60, v68, v72, v60
	;;#ASMEND
	;;#ASMSTART
	v_dot2_f32_f16 v59, v65, v73, v59
	;;#ASMEND
	;;#ASMSTART
	v_dot2_f32_f16 v59, v66, v74, v59
	;;#ASMEND
	;;#ASMSTART
	v_dot2_f32_f16 v59, v67, v75, v59
	;;#ASMEND
	;;#ASMSTART
	v_dot2_f32_f16 v59, v68, v76, v59
	;;#ASMEND
	ds_read_b128 v[61:64], v26 offset:16
	ds_read_b128 v[65:68], v26 offset:4624
	ds_read_b128 v[69:72], v15 offset:656
	ds_read_b128 v[73:76], v15 offset:1808
	s_waitcnt lgkmcnt(1)
	;;#ASMSTART
	v_dot2_f32_f16 v10, v61, v69, v10
	;;#ASMEND
	;;#ASMSTART
	v_dot2_f32_f16 v10, v62, v70, v10
	;;#ASMEND
	;;#ASMSTART
	v_dot2_f32_f16 v10, v63, v71, v10
	;;#ASMEND
	;;#ASMSTART
	v_dot2_f32_f16 v10, v64, v72, v10
	;;#ASMEND
	s_waitcnt lgkmcnt(0)
	;;#ASMSTART
	v_dot2_f32_f16 v11, v61, v73, v11
	;;#ASMEND
	;;#ASMSTART
	v_dot2_f32_f16 v11, v62, v74, v11
	;;#ASMEND
	;;#ASMSTART
	v_dot2_f32_f16 v11, v63, v75, v11
	;;#ASMEND
	;;#ASMSTART
	v_dot2_f32_f16 v11, v64, v76, v11
	;;#ASMEND
	;;#ASMSTART
	v_dot2_f32_f16 v60, v65, v69, v60
	;;#ASMEND
	;;#ASMSTART
	v_dot2_f32_f16 v60, v66, v70, v60
	;;#ASMEND
	;;#ASMSTART
	v_dot2_f32_f16 v60, v67, v71, v60
	;;#ASMEND
	;;#ASMSTART
	v_dot2_f32_f16 v60, v68, v72, v60
	;;#ASMEND
	;;#ASMSTART
	v_dot2_f32_f16 v59, v65, v73, v59
	;;#ASMEND
	;;#ASMSTART
	v_dot2_f32_f16 v59, v66, v74, v59
	;;#ASMEND
	;;#ASMSTART
	v_dot2_f32_f16 v59, v67, v75, v59
	;;#ASMEND
	;;#ASMSTART
	v_dot2_f32_f16 v59, v68, v76, v59
	;;#ASMEND
	ds_read_b128 v[61:64], v26 offset:32
	;; [unrolled: 54-line block ×7, first 2 shown]
	ds_read_b128 v[65:68], v26 offset:4720
	ds_read_b128 v[69:72], v15 offset:752
	;; [unrolled: 1-line block ×3, first 2 shown]
	s_waitcnt lgkmcnt(1)
	;;#ASMSTART
	v_dot2_f32_f16 v10, v61, v69, v10
	;;#ASMEND
	;;#ASMSTART
	v_dot2_f32_f16 v10, v62, v70, v10
	;;#ASMEND
	;;#ASMSTART
	v_dot2_f32_f16 v10, v63, v71, v10
	;;#ASMEND
	;;#ASMSTART
	v_dot2_f32_f16 v10, v64, v72, v10
	;;#ASMEND
	s_waitcnt lgkmcnt(0)
	;;#ASMSTART
	v_dot2_f32_f16 v11, v61, v73, v11
	;;#ASMEND
	;;#ASMSTART
	v_dot2_f32_f16 v11, v62, v74, v11
	;;#ASMEND
	;; [unrolled: 3-line block ×12, first 2 shown]
	s_barrier
	global_load_dwordx4 v[61:64], v[1:2], off offset:768
	s_waitcnt vmcnt(0)
	ds_write_b128 v24, v[61:64]
	global_load_dwordx4 v[61:64], v[3:4], off offset:768
	s_waitcnt vmcnt(0)
	ds_write_b128 v25, v[61:64]
	s_waitcnt lgkmcnt(0)
	s_barrier
	ds_read_b128 v[61:64], v26
	ds_read_b128 v[65:68], v26 offset:4608
	ds_read_b128 v[69:72], v15 offset:768
	ds_read_b128 v[73:76], v15 offset:1920
	s_waitcnt lgkmcnt(1)
	;;#ASMSTART
	v_dot2_f32_f16 v10, v61, v69, v10
	;;#ASMEND
	;;#ASMSTART
	v_dot2_f32_f16 v10, v62, v70, v10
	;;#ASMEND
	;;#ASMSTART
	v_dot2_f32_f16 v10, v63, v71, v10
	;;#ASMEND
	;;#ASMSTART
	v_dot2_f32_f16 v10, v64, v72, v10
	;;#ASMEND
	s_waitcnt lgkmcnt(0)
	;;#ASMSTART
	v_dot2_f32_f16 v11, v61, v73, v11
	;;#ASMEND
	;;#ASMSTART
	v_dot2_f32_f16 v11, v62, v74, v11
	;;#ASMEND
	;;#ASMSTART
	v_dot2_f32_f16 v11, v63, v75, v11
	;;#ASMEND
	;;#ASMSTART
	v_dot2_f32_f16 v11, v64, v76, v11
	;;#ASMEND
	;;#ASMSTART
	v_dot2_f32_f16 v60, v65, v69, v60
	;;#ASMEND
	;;#ASMSTART
	v_dot2_f32_f16 v60, v66, v70, v60
	;;#ASMEND
	;;#ASMSTART
	v_dot2_f32_f16 v60, v67, v71, v60
	;;#ASMEND
	;;#ASMSTART
	v_dot2_f32_f16 v60, v68, v72, v60
	;;#ASMEND
	;;#ASMSTART
	v_dot2_f32_f16 v59, v65, v73, v59
	;;#ASMEND
	;;#ASMSTART
	v_dot2_f32_f16 v59, v66, v74, v59
	;;#ASMEND
	;;#ASMSTART
	v_dot2_f32_f16 v59, v67, v75, v59
	;;#ASMEND
	;;#ASMSTART
	v_dot2_f32_f16 v59, v68, v76, v59
	;;#ASMEND
	ds_read_b128 v[61:64], v26 offset:16
	ds_read_b128 v[65:68], v26 offset:4624
	ds_read_b128 v[69:72], v15 offset:784
	ds_read_b128 v[73:76], v15 offset:1936
	s_waitcnt lgkmcnt(1)
	;;#ASMSTART
	v_dot2_f32_f16 v10, v61, v69, v10
	;;#ASMEND
	;;#ASMSTART
	v_dot2_f32_f16 v10, v62, v70, v10
	;;#ASMEND
	;;#ASMSTART
	v_dot2_f32_f16 v10, v63, v71, v10
	;;#ASMEND
	;;#ASMSTART
	v_dot2_f32_f16 v10, v64, v72, v10
	;;#ASMEND
	s_waitcnt lgkmcnt(0)
	;;#ASMSTART
	v_dot2_f32_f16 v11, v61, v73, v11
	;;#ASMEND
	;;#ASMSTART
	v_dot2_f32_f16 v11, v62, v74, v11
	;;#ASMEND
	;;#ASMSTART
	v_dot2_f32_f16 v11, v63, v75, v11
	;;#ASMEND
	;;#ASMSTART
	v_dot2_f32_f16 v11, v64, v76, v11
	;;#ASMEND
	;;#ASMSTART
	v_dot2_f32_f16 v60, v65, v69, v60
	;;#ASMEND
	;;#ASMSTART
	v_dot2_f32_f16 v60, v66, v70, v60
	;;#ASMEND
	;;#ASMSTART
	v_dot2_f32_f16 v60, v67, v71, v60
	;;#ASMEND
	;;#ASMSTART
	v_dot2_f32_f16 v60, v68, v72, v60
	;;#ASMEND
	;;#ASMSTART
	v_dot2_f32_f16 v59, v65, v73, v59
	;;#ASMEND
	;;#ASMSTART
	v_dot2_f32_f16 v59, v66, v74, v59
	;;#ASMEND
	;;#ASMSTART
	v_dot2_f32_f16 v59, v67, v75, v59
	;;#ASMEND
	;;#ASMSTART
	v_dot2_f32_f16 v59, v68, v76, v59
	;;#ASMEND
	ds_read_b128 v[61:64], v26 offset:32
	;; [unrolled: 54-line block ×7, first 2 shown]
	ds_read_b128 v[65:68], v26 offset:4720
	ds_read_b128 v[69:72], v15 offset:880
	ds_read_b128 v[73:76], v15 offset:2032
	s_waitcnt lgkmcnt(1)
	;;#ASMSTART
	v_dot2_f32_f16 v10, v61, v69, v10
	;;#ASMEND
	;;#ASMSTART
	v_dot2_f32_f16 v10, v62, v70, v10
	;;#ASMEND
	;; [unrolled: 3-line block ×4, first 2 shown]
	s_waitcnt lgkmcnt(0)
	;;#ASMSTART
	v_dot2_f32_f16 v11, v61, v73, v11
	;;#ASMEND
	;;#ASMSTART
	v_dot2_f32_f16 v11, v62, v74, v11
	;;#ASMEND
	;; [unrolled: 3-line block ×12, first 2 shown]
	s_barrier
	global_load_dwordx4 v[61:64], v[1:2], off offset:896
	s_waitcnt vmcnt(0)
	ds_write_b128 v24, v[61:64]
	global_load_dwordx4 v[61:64], v[3:4], off offset:896
	s_waitcnt vmcnt(0)
	ds_write_b128 v25, v[61:64]
	s_waitcnt lgkmcnt(0)
	s_barrier
	ds_read_b128 v[61:64], v26
	ds_read_b128 v[65:68], v26 offset:4608
	ds_read_b128 v[69:72], v15 offset:896
	ds_read_b128 v[73:76], v15 offset:2048
	s_waitcnt lgkmcnt(1)
	;;#ASMSTART
	v_dot2_f32_f16 v10, v61, v69, v10
	;;#ASMEND
	;;#ASMSTART
	v_dot2_f32_f16 v10, v62, v70, v10
	;;#ASMEND
	;;#ASMSTART
	v_dot2_f32_f16 v10, v63, v71, v10
	;;#ASMEND
	;;#ASMSTART
	v_dot2_f32_f16 v10, v64, v72, v10
	;;#ASMEND
	s_waitcnt lgkmcnt(0)
	;;#ASMSTART
	v_dot2_f32_f16 v11, v61, v73, v11
	;;#ASMEND
	;;#ASMSTART
	v_dot2_f32_f16 v11, v62, v74, v11
	;;#ASMEND
	;;#ASMSTART
	v_dot2_f32_f16 v11, v63, v75, v11
	;;#ASMEND
	;;#ASMSTART
	v_dot2_f32_f16 v11, v64, v76, v11
	;;#ASMEND
	;;#ASMSTART
	v_dot2_f32_f16 v60, v65, v69, v60
	;;#ASMEND
	;;#ASMSTART
	v_dot2_f32_f16 v60, v66, v70, v60
	;;#ASMEND
	;;#ASMSTART
	v_dot2_f32_f16 v60, v67, v71, v60
	;;#ASMEND
	;;#ASMSTART
	v_dot2_f32_f16 v60, v68, v72, v60
	;;#ASMEND
	;;#ASMSTART
	v_dot2_f32_f16 v59, v65, v73, v59
	;;#ASMEND
	;;#ASMSTART
	v_dot2_f32_f16 v59, v66, v74, v59
	;;#ASMEND
	;;#ASMSTART
	v_dot2_f32_f16 v59, v67, v75, v59
	;;#ASMEND
	;;#ASMSTART
	v_dot2_f32_f16 v59, v68, v76, v59
	;;#ASMEND
	ds_read_b128 v[61:64], v26 offset:16
	ds_read_b128 v[65:68], v26 offset:4624
	ds_read_b128 v[69:72], v15 offset:912
	ds_read_b128 v[73:76], v15 offset:2064
	s_waitcnt lgkmcnt(1)
	;;#ASMSTART
	v_dot2_f32_f16 v10, v61, v69, v10
	;;#ASMEND
	;;#ASMSTART
	v_dot2_f32_f16 v10, v62, v70, v10
	;;#ASMEND
	;;#ASMSTART
	v_dot2_f32_f16 v10, v63, v71, v10
	;;#ASMEND
	;;#ASMSTART
	v_dot2_f32_f16 v10, v64, v72, v10
	;;#ASMEND
	s_waitcnt lgkmcnt(0)
	;;#ASMSTART
	v_dot2_f32_f16 v11, v61, v73, v11
	;;#ASMEND
	;;#ASMSTART
	v_dot2_f32_f16 v11, v62, v74, v11
	;;#ASMEND
	;;#ASMSTART
	v_dot2_f32_f16 v11, v63, v75, v11
	;;#ASMEND
	;;#ASMSTART
	v_dot2_f32_f16 v11, v64, v76, v11
	;;#ASMEND
	;;#ASMSTART
	v_dot2_f32_f16 v60, v65, v69, v60
	;;#ASMEND
	;;#ASMSTART
	v_dot2_f32_f16 v60, v66, v70, v60
	;;#ASMEND
	;;#ASMSTART
	v_dot2_f32_f16 v60, v67, v71, v60
	;;#ASMEND
	;;#ASMSTART
	v_dot2_f32_f16 v60, v68, v72, v60
	;;#ASMEND
	;;#ASMSTART
	v_dot2_f32_f16 v59, v65, v73, v59
	;;#ASMEND
	;;#ASMSTART
	v_dot2_f32_f16 v59, v66, v74, v59
	;;#ASMEND
	;;#ASMSTART
	v_dot2_f32_f16 v59, v67, v75, v59
	;;#ASMEND
	;;#ASMSTART
	v_dot2_f32_f16 v59, v68, v76, v59
	;;#ASMEND
	ds_read_b128 v[61:64], v26 offset:32
	;; [unrolled: 54-line block ×7, first 2 shown]
	ds_read_b128 v[65:68], v26 offset:4720
	ds_read_b128 v[69:72], v15 offset:1008
	;; [unrolled: 1-line block ×3, first 2 shown]
	s_waitcnt lgkmcnt(1)
	;;#ASMSTART
	v_dot2_f32_f16 v10, v61, v69, v10
	;;#ASMEND
	;;#ASMSTART
	v_dot2_f32_f16 v10, v62, v70, v10
	;;#ASMEND
	;; [unrolled: 3-line block ×4, first 2 shown]
	s_waitcnt lgkmcnt(0)
	;;#ASMSTART
	v_dot2_f32_f16 v11, v61, v73, v11
	;;#ASMEND
	;;#ASMSTART
	v_dot2_f32_f16 v11, v62, v74, v11
	;;#ASMEND
	;; [unrolled: 3-line block ×12, first 2 shown]
	s_barrier
	global_load_dwordx4 v[61:64], v[1:2], off offset:1024
	s_waitcnt vmcnt(0)
	ds_write_b128 v24, v[61:64]
	global_load_dwordx4 v[1:4], v[3:4], off offset:1024
	s_waitcnt vmcnt(0)
	ds_write_b128 v25, v[1:4]
	s_waitcnt lgkmcnt(0)
	s_barrier
	ds_read_b128 v[1:4], v26
	ds_read_b128 v[61:64], v26 offset:4608
	ds_read_b128 v[65:68], v15 offset:1024
	ds_read_b128 v[69:72], v15 offset:2176
	s_waitcnt lgkmcnt(1)
	;;#ASMSTART
	v_dot2_f32_f16 v10, v1, v65, v10
	;;#ASMEND
	;;#ASMSTART
	v_dot2_f32_f16 v10, v2, v66, v10
	;;#ASMEND
	;;#ASMSTART
	v_dot2_f32_f16 v10, v3, v67, v10
	;;#ASMEND
	;;#ASMSTART
	v_dot2_f32_f16 v10, v4, v68, v10
	;;#ASMEND
	s_waitcnt lgkmcnt(0)
	;;#ASMSTART
	v_dot2_f32_f16 v11, v1, v69, v11
	;;#ASMEND
	;;#ASMSTART
	v_dot2_f32_f16 v11, v2, v70, v11
	;;#ASMEND
	;;#ASMSTART
	v_dot2_f32_f16 v11, v3, v71, v11
	;;#ASMEND
	;;#ASMSTART
	v_dot2_f32_f16 v11, v4, v72, v11
	;;#ASMEND
	;;#ASMSTART
	v_dot2_f32_f16 v60, v61, v65, v60
	;;#ASMEND
	;;#ASMSTART
	v_dot2_f32_f16 v60, v62, v66, v60
	;;#ASMEND
	;;#ASMSTART
	v_dot2_f32_f16 v60, v63, v67, v60
	;;#ASMEND
	;;#ASMSTART
	v_dot2_f32_f16 v60, v64, v68, v60
	;;#ASMEND
	;;#ASMSTART
	v_dot2_f32_f16 v59, v61, v69, v59
	;;#ASMEND
	;;#ASMSTART
	v_dot2_f32_f16 v59, v62, v70, v59
	;;#ASMEND
	;;#ASMSTART
	v_dot2_f32_f16 v59, v63, v71, v59
	;;#ASMEND
	;;#ASMSTART
	v_dot2_f32_f16 v59, v64, v72, v59
	;;#ASMEND
	ds_read_b128 v[1:4], v26 offset:16
	ds_read_b128 v[61:64], v26 offset:4624
	ds_read_b128 v[65:68], v15 offset:1040
	ds_read_b128 v[69:72], v15 offset:2192
	s_waitcnt lgkmcnt(1)
	;;#ASMSTART
	v_dot2_f32_f16 v10, v1, v65, v10
	;;#ASMEND
	;;#ASMSTART
	v_dot2_f32_f16 v10, v2, v66, v10
	;;#ASMEND
	;;#ASMSTART
	v_dot2_f32_f16 v10, v3, v67, v10
	;;#ASMEND
	;;#ASMSTART
	v_dot2_f32_f16 v10, v4, v68, v10
	;;#ASMEND
	s_waitcnt lgkmcnt(0)
	;;#ASMSTART
	v_dot2_f32_f16 v11, v1, v69, v11
	;;#ASMEND
	;;#ASMSTART
	v_dot2_f32_f16 v11, v2, v70, v11
	;;#ASMEND
	;;#ASMSTART
	v_dot2_f32_f16 v11, v3, v71, v11
	;;#ASMEND
	;;#ASMSTART
	v_dot2_f32_f16 v11, v4, v72, v11
	;;#ASMEND
	;;#ASMSTART
	v_dot2_f32_f16 v60, v61, v65, v60
	;;#ASMEND
	;;#ASMSTART
	v_dot2_f32_f16 v60, v62, v66, v60
	;;#ASMEND
	;;#ASMSTART
	v_dot2_f32_f16 v60, v63, v67, v60
	;;#ASMEND
	;;#ASMSTART
	v_dot2_f32_f16 v60, v64, v68, v60
	;;#ASMEND
	;;#ASMSTART
	v_dot2_f32_f16 v59, v61, v69, v59
	;;#ASMEND
	;;#ASMSTART
	v_dot2_f32_f16 v59, v62, v70, v59
	;;#ASMEND
	;;#ASMSTART
	v_dot2_f32_f16 v59, v63, v71, v59
	;;#ASMEND
	;;#ASMSTART
	v_dot2_f32_f16 v59, v64, v72, v59
	;;#ASMEND
	ds_read_b128 v[1:4], v26 offset:32
	;; [unrolled: 54-line block ×7, first 2 shown]
	ds_read_b128 v[61:64], v26 offset:4720
	ds_read_b128 v[65:68], v15 offset:1136
	;; [unrolled: 1-line block ×3, first 2 shown]
	s_waitcnt lgkmcnt(1)
	;;#ASMSTART
	v_dot2_f32_f16 v10, v1, v65, v10
	;;#ASMEND
	;;#ASMSTART
	v_dot2_f32_f16 v10, v2, v66, v10
	;;#ASMEND
	;; [unrolled: 3-line block ×4, first 2 shown]
	s_waitcnt lgkmcnt(0)
	;;#ASMSTART
	v_dot2_f32_f16 v11, v1, v69, v11
	;;#ASMEND
	;;#ASMSTART
	v_dot2_f32_f16 v11, v2, v70, v11
	;;#ASMEND
	;; [unrolled: 3-line block ×5, first 2 shown]
	v_cndmask_b32_e32 v2, v16, v22, vcc
	v_cmp_lt_i32_e32 vcc, v21, v17
	;;#ASMSTART
	v_dot2_f32_f16 v60, v62, v66, v60
	;;#ASMEND
	v_lshlrev_b32_e32 v3, 2, v2
	v_cndmask_b32_e32 v2, v16, v21, vcc
	v_cmp_lt_i32_e32 vcc, v20, v17
	;;#ASMSTART
	v_dot2_f32_f16 v60, v63, v67, v60
	;;#ASMEND
	v_lshlrev_b32_e32 v4, 2, v2
	v_cndmask_b32_e32 v2, v16, v20, vcc
	v_cmp_lt_i32_e32 vcc, v19, v17
	;;#ASMSTART
	v_dot2_f32_f16 v60, v64, v68, v60
	;;#ASMEND
	;;#ASMSTART
	v_dot2_f32_f16 v59, v61, v69, v59
	;;#ASMEND
	v_lshlrev_b32_e32 v61, 2, v2
	v_cndmask_b32_e32 v2, v16, v19, vcc
	v_cmp_lt_i32_e32 vcc, v18, v17
	;;#ASMSTART
	v_dot2_f32_f16 v59, v62, v70, v59
	;;#ASMEND
	v_add_u32_e32 v1, s6, v5
	v_lshlrev_b32_e32 v62, 2, v2
	v_cndmask_b32_e32 v2, v16, v18, vcc
	;;#ASMSTART
	v_dot2_f32_f16 v59, v63, v71, v59
	;;#ASMEND
	v_lshlrev_b32_e32 v63, 2, v2
	v_ashrrev_i32_e32 v2, 31, v1
	v_lshlrev_b64 v[1:2], 1, v[1:2]
	;;#ASMSTART
	v_dot2_f32_f16 v59, v64, v72, v59
	;;#ASMEND
	v_add_co_u32_e32 v1, vcc, s26, v1
	v_addc_co_u32_e32 v2, vcc, v34, v2, vcc
	global_load_ushort v64, v[1:2], off
	s_waitcnt vmcnt(0)
	v_cvt_f32_f16_e32 v64, v64
	global_load_ushort v1, v[1:2], off offset:64
	s_waitcnt vmcnt(0)
	s_barrier
	v_add_f32_e32 v65, v10, v64
	v_add_f32_e32 v10, 0x40051340, v65
	;; [unrolled: 1-line block ×4, first 2 shown]
	v_cvt_f32_f16_e32 v1, v1
	v_add_f32_e32 v2, v60, v1
	v_add_f32_e32 v60, 0x40051340, v2
	;; [unrolled: 1-line block ×3, first 2 shown]
	v_max3_f32 v10, v40, v10, v60
	v_add_f32_e32 v1, 0x40051340, v66
	ds_bpermute_b32 v60, v3, v10
	v_max3_f32 v1, v57, v11, v1
	ds_bpermute_b32 v3, v3, v1
	s_waitcnt lgkmcnt(1)
	v_max_f32_e32 v60, v60, v60
	v_max_f32_e32 v10, v10, v60
	s_waitcnt lgkmcnt(0)
	v_max_f32_e32 v3, v3, v3
	ds_bpermute_b32 v60, v4, v10
	v_max_f32_e32 v1, v1, v3
	ds_bpermute_b32 v3, v4, v1
	s_waitcnt lgkmcnt(1)
	v_max_f32_e32 v60, v60, v60
	v_max_f32_e32 v10, v10, v60
	s_waitcnt lgkmcnt(0)
	v_max_f32_e32 v3, v3, v3
	ds_bpermute_b32 v60, v61, v10
	v_max_f32_e32 v1, v1, v3
	;; [unrolled: 8-line block ×4, first 2 shown]
	ds_bpermute_b32 v3, v63, v1
	s_waitcnt lgkmcnt(1)
	v_max_f32_e32 v60, v60, v60
	v_max_f32_e32 v10, v10, v60
	s_waitcnt lgkmcnt(0)
	v_max_f32_e32 v3, v3, v3
	v_max_f32_e32 v11, v1, v3
	v_sub_f32_e32 v3, v65, v10
	v_mul_f32_e32 v4, 0x3fb8aa3b, v3
	v_sub_f32_e32 v1, v40, v10
	v_fma_f32 v40, v3, s12, -v4
	v_rndne_f32_e32 v59, v4
	v_fmac_f32_e32 v40, 0x32a5705f, v3
	v_sub_f32_e32 v4, v4, v59
	v_add_f32_e32 v4, v4, v40
	v_exp_f32_e32 v4, v4
	v_cvt_i32_f32_e32 v40, v59
	v_cmp_ngt_f32_e32 vcc, s13, v3
	v_sub_f32_e32 v2, v2, v10
	v_ldexp_f32 v4, v4, v40
	v_cndmask_b32_e32 v4, 0, v4, vcc
	v_cmp_nlt_f32_e32 vcc, s14, v3
	v_cndmask_b32_e32 v3, v35, v4, vcc
	v_mul_f32_e32 v4, 0x3fb8aa3b, v2
	v_fma_f32 v40, v2, s12, -v4
	v_rndne_f32_e32 v59, v4
	v_fmac_f32_e32 v40, 0x32a5705f, v2
	v_sub_f32_e32 v4, v4, v59
	v_add_f32_e32 v4, v4, v40
	v_exp_f32_e32 v4, v4
	v_cvt_i32_f32_e32 v40, v59
	v_cmp_ngt_f32_e32 vcc, s13, v2
	v_cvt_f16_f32_e32 v60, v3
	v_ldexp_f32 v4, v4, v40
	v_cndmask_b32_e32 v4, 0, v4, vcc
	v_cmp_nlt_f32_e32 vcc, s14, v2
	v_cndmask_b32_e32 v2, v35, v4, vcc
	v_add_f32_e32 v40, v3, v2
	v_cvt_f16_f32_e32 v61, v2
	v_mul_f32_e32 v2, 0x3fb8aa3b, v1
	v_fma_f32 v3, v1, s12, -v2
	v_rndne_f32_e32 v4, v2
	v_fmac_f32_e32 v3, 0x32a5705f, v1
	v_sub_f32_e32 v2, v2, v4
	v_add_f32_e32 v2, v2, v3
	v_exp_f32_e32 v2, v2
	v_cvt_i32_f32_e32 v3, v4
	v_cmp_ngt_f32_e32 vcc, s13, v1
	v_ldexp_f32 v2, v2, v3
	v_cndmask_b32_e32 v2, 0, v2, vcc
	v_cmp_nlt_f32_e32 vcc, s14, v1
	v_cndmask_b32_e32 v1, v35, v2, vcc
	v_fmac_f32_e32 v40, v58, v1
	v_cvt_f16_f32_e32 v1, v1
	v_mul_u32_u24_e32 v59, 0x10001, v1
	v_pk_mul_f16 v2, v50, v59
	v_sub_f32_e32 v50, v64, v11
	v_pk_mul_f16 v1, v51, v59
	v_mul_f32_e32 v51, 0x3fb8aa3b, v50
	v_pk_mul_f16 v58, v56, v59
	v_pk_mul_f16 v56, v54, v59
	v_pk_mul_f16 v54, v55, v59
	v_pk_mul_f16 v4, v52, v59
	v_fma_f32 v52, v50, s12, -v51
	v_rndne_f32_e32 v55, v51
	v_fmac_f32_e32 v52, 0x32a5705f, v50
	v_sub_f32_e32 v51, v51, v55
	v_add_f32_e32 v51, v51, v52
	v_exp_f32_e32 v51, v51
	v_cvt_i32_f32_e32 v52, v55
	v_pk_mul_f16 v3, v53, v59
	v_sub_f32_e32 v53, v57, v11
	v_cmp_ngt_f32_e32 vcc, s13, v50
	v_ldexp_f32 v51, v51, v52
	v_sub_f32_e32 v52, v66, v11
	v_mul_f32_e32 v55, 0x3fb8aa3b, v52
	v_fma_f32 v57, v52, s12, -v55
	v_rndne_f32_e32 v62, v55
	v_fmac_f32_e32 v57, 0x32a5705f, v52
	v_sub_f32_e32 v55, v55, v62
	v_add_f32_e32 v55, v55, v57
	v_exp_f32_e32 v55, v55
	v_cvt_i32_f32_e32 v57, v62
	v_cndmask_b32_e32 v51, 0, v51, vcc
	v_cmp_nlt_f32_e32 vcc, s14, v50
	v_cndmask_b32_e32 v51, v35, v51, vcc
	v_ldexp_f32 v55, v55, v57
	v_cmp_ngt_f32_e32 vcc, s13, v52
	v_cndmask_b32_e32 v55, 0, v55, vcc
	v_cmp_nlt_f32_e32 vcc, s14, v52
	v_cndmask_b32_e32 v55, v35, v55, vcc
	v_cvt_f16_f32_e32 v50, v51
	v_add_f32_e32 v52, v51, v55
	v_cvt_f16_f32_e32 v51, v55
	v_mul_f32_e32 v55, 0x3fb8aa3b, v53
	v_fma_f32 v57, v53, s12, -v55
	v_rndne_f32_e32 v62, v55
	v_fmac_f32_e32 v57, 0x32a5705f, v53
	v_sub_f32_e32 v55, v55, v62
	v_add_f32_e32 v55, v55, v57
	v_exp_f32_e32 v55, v55
	v_cvt_i32_f32_e32 v57, v62
	v_cmp_ngt_f32_e32 vcc, s13, v53
	v_ldexp_f32 v55, v55, v57
	v_cndmask_b32_e32 v55, 0, v55, vcc
	v_cmp_nlt_f32_e32 vcc, s14, v53
	v_cndmask_b32_e32 v53, v35, v55, vcc
	v_mov_b32_e32 v55, v23
	v_mov_b32_e32 v23, v52
	v_cvt_f16_f32_e32 v52, v53
	v_fmac_f32_e32 v23, v55, v53
	v_mul_u32_u24_e32 v55, 0x10001, v52
	v_pk_mul_f16 v70, v44, v55
	v_pk_mul_f16 v72, v43, v55
	v_pack_b32_f16 v43, v60, v50
	v_pack_b32_f16 v44, v61, v51
	v_pk_mul_f16 v69, v47, v55
	ds_write2_b32 v36, v43, v44 offset1:32
	v_add_co_u32_e32 v47, vcc, s18, v31
	v_mov_b32_e32 v43, s19
	v_pk_mul_f16 v57, v48, v55
	v_addc_co_u32_e32 v48, vcc, v32, v43, vcc
	v_pk_mul_f16 v68, v46, v55
	v_pk_mul_f16 v71, v45, v55
	global_load_dwordx4 v[43:46], v[47:48], off
	v_pk_mul_f16 v41, v41, v55
	s_or_b32 s18, s6, 8
	s_mul_hi_i32 s19, s18, s8
	s_mul_i32 s18, s18, s8
	s_lshl_b64 s[18:19], s[18:19], 2
	s_waitcnt vmcnt(0)
	ds_write_b128 v28, v[43:46]
	global_load_dwordx4 v[43:46], v[47:48], off offset:512
	s_waitcnt vmcnt(0)
	ds_write_b128 v29, v[43:46]
	s_waitcnt lgkmcnt(0)
	s_barrier
	ds_read2_b64 v[43:46], v30 offset1:32
	ds_read2_b64 v[50:53], v30 offset0:64 offset1:96
	ds_read_b128 v[60:63], v27
	ds_read_b128 v[64:67], v27 offset:16
	s_waitcnt lgkmcnt(1)
	v_mul_u32_u24_sdwa v47, v60, s15 dst_sel:DWORD dst_unused:UNUSED_PAD src0_sel:WORD_0 src1_sel:DWORD
	v_mul_u32_u24_sdwa v48, v60, s15 dst_sel:DWORD dst_unused:UNUSED_PAD src0_sel:WORD_1 src1_sel:DWORD
	v_pk_mul_f16 v60, v43, v47
	v_pk_mul_f16 v43, v43, v48
	v_pk_fma_f16 v49, v49, v59, v60
	v_pk_fma_f16 v55, v42, v55, v43
	v_pk_fma_f16 v58, v44, v47, v58
	v_pk_fma_f16 v57, v44, v48, v57
	v_pk_fma_f16 v56, v45, v47, v56
	v_pk_fma_f16 v45, v45, v48, v68
	v_pk_fma_f16 v54, v46, v47, v54
	v_pk_fma_f16 v46, v46, v48, v69
	v_pk_fma_f16 v59, v50, v47, v4
	v_pk_fma_f16 v50, v50, v48, v70
	v_pk_fma_f16 v60, v51, v47, v3
	v_pk_fma_f16 v51, v51, v48, v71
	v_pk_fma_f16 v68, v52, v47, v2
	v_pk_fma_f16 v52, v52, v48, v72
	v_pk_fma_f16 v47, v53, v47, v1
	v_pk_fma_f16 v48, v53, v48, v41
	ds_read2_b64 v[1:4], v30 offset0:128 offset1:160
	ds_read2_b64 v[41:44], v30 offset0:192 offset1:224
	v_mul_u32_u24_sdwa v53, v61, s15 dst_sel:DWORD dst_unused:UNUSED_PAD src0_sel:WORD_0 src1_sel:DWORD
	v_mul_u32_u24_sdwa v61, v61, s15 dst_sel:DWORD dst_unused:UNUSED_PAD src0_sel:WORD_1 src1_sel:DWORD
	s_waitcnt lgkmcnt(1)
	v_pk_fma_f16 v49, v1, v53, v49
	v_pk_fma_f16 v55, v1, v61, v55
	;; [unrolled: 1-line block ×8, first 2 shown]
	s_waitcnt lgkmcnt(0)
	v_pk_fma_f16 v59, v41, v53, v59
	v_pk_fma_f16 v50, v41, v61, v50
	;; [unrolled: 1-line block ×8, first 2 shown]
	ds_read2_b64 v[1:4], v37 offset1:32
	ds_read2_b64 v[41:44], v37 offset0:64 offset1:96
	v_mul_u32_u24_sdwa v53, v62, s15 dst_sel:DWORD dst_unused:UNUSED_PAD src0_sel:WORD_0 src1_sel:DWORD
	v_mul_u32_u24_sdwa v61, v62, s15 dst_sel:DWORD dst_unused:UNUSED_PAD src0_sel:WORD_1 src1_sel:DWORD
	s_waitcnt lgkmcnt(1)
	v_pk_fma_f16 v49, v1, v53, v49
	v_pk_fma_f16 v55, v1, v61, v55
	;; [unrolled: 1-line block ×8, first 2 shown]
	s_waitcnt lgkmcnt(0)
	v_pk_fma_f16 v59, v41, v53, v59
	v_pk_fma_f16 v50, v41, v61, v50
	;; [unrolled: 1-line block ×8, first 2 shown]
	ds_read2_b64 v[1:4], v37 offset0:128 offset1:160
	ds_read2_b64 v[41:44], v37 offset0:192 offset1:224
	v_mul_u32_u24_sdwa v53, v63, s15 dst_sel:DWORD dst_unused:UNUSED_PAD src0_sel:WORD_0 src1_sel:DWORD
	v_mul_u32_u24_sdwa v61, v63, s15 dst_sel:DWORD dst_unused:UNUSED_PAD src0_sel:WORD_1 src1_sel:DWORD
	v_mul_u32_u24_sdwa v68, v67, s15 dst_sel:DWORD dst_unused:UNUSED_PAD src0_sel:WORD_0 src1_sel:DWORD
	s_waitcnt lgkmcnt(1)
	v_pk_fma_f16 v49, v1, v53, v49
	v_pk_fma_f16 v55, v1, v61, v55
	;; [unrolled: 1-line block ×8, first 2 shown]
	s_waitcnt lgkmcnt(0)
	v_pk_fma_f16 v59, v41, v53, v59
	v_pk_fma_f16 v50, v41, v61, v50
	v_pk_fma_f16 v60, v42, v53, v60
	v_pk_fma_f16 v51, v42, v61, v51
	v_pk_fma_f16 v62, v43, v53, v62
	v_pk_fma_f16 v52, v43, v61, v52
	v_pk_fma_f16 v47, v44, v53, v47
	v_pk_fma_f16 v48, v44, v61, v48
	ds_read2_b64 v[1:4], v38 offset1:32
	ds_read2_b64 v[41:44], v38 offset0:64 offset1:96
	v_mul_u32_u24_sdwa v53, v64, s15 dst_sel:DWORD dst_unused:UNUSED_PAD src0_sel:WORD_0 src1_sel:DWORD
	v_mul_u32_u24_sdwa v61, v64, s15 dst_sel:DWORD dst_unused:UNUSED_PAD src0_sel:WORD_1 src1_sel:DWORD
	v_mul_u32_u24_sdwa v67, v67, s15 dst_sel:DWORD dst_unused:UNUSED_PAD src0_sel:WORD_1 src1_sel:DWORD
	s_waitcnt lgkmcnt(1)
	v_pk_fma_f16 v49, v1, v53, v49
	v_pk_fma_f16 v55, v1, v61, v55
	;; [unrolled: 1-line block ×8, first 2 shown]
	s_waitcnt lgkmcnt(0)
	v_pk_fma_f16 v59, v41, v53, v59
	v_pk_fma_f16 v50, v41, v61, v50
	;; [unrolled: 1-line block ×8, first 2 shown]
	ds_read2_b64 v[1:4], v38 offset0:128 offset1:160
	ds_read2_b64 v[41:44], v38 offset0:192 offset1:224
	v_mul_u32_u24_sdwa v53, v65, s15 dst_sel:DWORD dst_unused:UNUSED_PAD src0_sel:WORD_0 src1_sel:DWORD
	v_mul_u32_u24_sdwa v61, v65, s15 dst_sel:DWORD dst_unused:UNUSED_PAD src0_sel:WORD_1 src1_sel:DWORD
	s_waitcnt lgkmcnt(1)
	v_pk_fma_f16 v49, v1, v53, v49
	v_pk_fma_f16 v55, v1, v61, v55
	;; [unrolled: 1-line block ×8, first 2 shown]
	s_waitcnt lgkmcnt(0)
	v_pk_fma_f16 v59, v41, v53, v59
	v_pk_fma_f16 v50, v41, v61, v50
	;; [unrolled: 1-line block ×8, first 2 shown]
	ds_read2_b64 v[1:4], v39 offset1:32
	ds_read2_b64 v[41:44], v39 offset0:64 offset1:96
	v_mul_u32_u24_sdwa v53, v66, s15 dst_sel:DWORD dst_unused:UNUSED_PAD src0_sel:WORD_0 src1_sel:DWORD
	v_mul_u32_u24_sdwa v61, v66, s15 dst_sel:DWORD dst_unused:UNUSED_PAD src0_sel:WORD_1 src1_sel:DWORD
	s_waitcnt lgkmcnt(1)
	v_pk_fma_f16 v63, v1, v53, v49
	v_pk_fma_f16 v55, v1, v61, v55
	;; [unrolled: 1-line block ×8, first 2 shown]
	s_waitcnt lgkmcnt(0)
	v_pk_fma_f16 v59, v41, v53, v59
	v_pk_fma_f16 v64, v41, v61, v50
	;; [unrolled: 1-line block ×8, first 2 shown]
	ds_read2_b64 v[41:44], v39 offset0:128 offset1:160
	ds_read2_b64 v[49:52], v39 offset0:192 offset1:224
	s_waitcnt lgkmcnt(0)
	s_barrier
	v_pk_fma_f16 v1, v41, v68, v63
	v_pk_fma_f16 v2, v41, v67, v55
	;; [unrolled: 1-line block ×15, first 2 shown]
	v_add_co_u32_e32 v57, vcc, s18, v31
	v_mov_b32_e32 v53, s19
	v_addc_co_u32_e32 v58, vcc, v32, v53, vcc
	global_load_dwordx4 v[53:56], v[57:58], off
	v_pk_fma_f16 v52, v52, v67, v61
	s_or_b32 s18, s6, 16
	s_mul_hi_i32 s19, s18, s8
	s_mul_i32 s18, s18, s8
	s_lshl_b64 s[18:19], s[18:19], 2
	s_waitcnt vmcnt(0)
	ds_write_b128 v28, v[53:56]
	global_load_dwordx4 v[53:56], v[57:58], off offset:512
	s_waitcnt vmcnt(0)
	ds_write_b128 v29, v[53:56]
	s_waitcnt lgkmcnt(0)
	s_barrier
	ds_read2_b64 v[53:56], v30 offset1:32
	ds_read2_b64 v[57:60], v30 offset0:64 offset1:96
	ds_read_b128 v[61:64], v27 offset:32
	ds_read_b128 v[65:68], v27 offset:48
	s_waitcnt lgkmcnt(1)
	v_mul_u32_u24_sdwa v69, v61, s15 dst_sel:DWORD dst_unused:UNUSED_PAD src0_sel:WORD_0 src1_sel:DWORD
	v_mul_u32_u24_sdwa v61, v61, s15 dst_sel:DWORD dst_unused:UNUSED_PAD src0_sel:WORD_1 src1_sel:DWORD
	v_pk_fma_f16 v70, v53, v69, v1
	v_pk_fma_f16 v53, v53, v61, v2
	;; [unrolled: 1-line block ×8, first 2 shown]
	ds_read2_b64 v[1:4], v30 offset0:128 offset1:160
	ds_read2_b64 v[41:44], v30 offset0:192 offset1:224
	v_pk_fma_f16 v45, v57, v69, v45
	v_pk_fma_f16 v46, v57, v61, v46
	;; [unrolled: 1-line block ×8, first 2 shown]
	v_mul_u32_u24_sdwa v57, v62, s15 dst_sel:DWORD dst_unused:UNUSED_PAD src0_sel:WORD_0 src1_sel:DWORD
	v_mul_u32_u24_sdwa v58, v62, s15 dst_sel:DWORD dst_unused:UNUSED_PAD src0_sel:WORD_1 src1_sel:DWORD
	s_waitcnt lgkmcnt(1)
	v_pk_fma_f16 v59, v1, v57, v70
	v_pk_fma_f16 v53, v1, v58, v53
	;; [unrolled: 1-line block ×8, first 2 shown]
	s_waitcnt lgkmcnt(0)
	v_pk_fma_f16 v45, v41, v57, v45
	v_pk_fma_f16 v46, v41, v58, v46
	;; [unrolled: 1-line block ×8, first 2 shown]
	ds_read2_b64 v[1:4], v37 offset1:32
	ds_read2_b64 v[41:44], v37 offset0:64 offset1:96
	v_mul_u32_u24_sdwa v57, v63, s15 dst_sel:DWORD dst_unused:UNUSED_PAD src0_sel:WORD_0 src1_sel:DWORD
	v_mul_u32_u24_sdwa v58, v63, s15 dst_sel:DWORD dst_unused:UNUSED_PAD src0_sel:WORD_1 src1_sel:DWORD
	s_waitcnt lgkmcnt(1)
	v_pk_fma_f16 v59, v1, v57, v59
	v_pk_fma_f16 v53, v1, v58, v53
	;; [unrolled: 1-line block ×8, first 2 shown]
	s_waitcnt lgkmcnt(0)
	v_pk_fma_f16 v45, v41, v57, v45
	v_pk_fma_f16 v46, v41, v58, v46
	;; [unrolled: 1-line block ×8, first 2 shown]
	ds_read2_b64 v[1:4], v37 offset0:128 offset1:160
	ds_read2_b64 v[41:44], v37 offset0:192 offset1:224
	v_mul_u32_u24_sdwa v57, v64, s15 dst_sel:DWORD dst_unused:UNUSED_PAD src0_sel:WORD_0 src1_sel:DWORD
	v_mul_u32_u24_sdwa v58, v64, s15 dst_sel:DWORD dst_unused:UNUSED_PAD src0_sel:WORD_1 src1_sel:DWORD
	s_waitcnt lgkmcnt(1)
	v_pk_fma_f16 v59, v1, v57, v59
	v_pk_fma_f16 v53, v1, v58, v53
	;; [unrolled: 1-line block ×8, first 2 shown]
	s_waitcnt lgkmcnt(0)
	v_pk_fma_f16 v45, v41, v57, v45
	v_pk_fma_f16 v46, v41, v58, v46
	;; [unrolled: 1-line block ×8, first 2 shown]
	ds_read2_b64 v[1:4], v38 offset1:32
	ds_read2_b64 v[41:44], v38 offset0:64 offset1:96
	v_mul_u32_u24_sdwa v57, v65, s15 dst_sel:DWORD dst_unused:UNUSED_PAD src0_sel:WORD_0 src1_sel:DWORD
	v_mul_u32_u24_sdwa v58, v65, s15 dst_sel:DWORD dst_unused:UNUSED_PAD src0_sel:WORD_1 src1_sel:DWORD
	v_mul_u32_u24_sdwa v65, v68, s15 dst_sel:DWORD dst_unused:UNUSED_PAD src0_sel:WORD_0 src1_sel:DWORD
	s_waitcnt lgkmcnt(1)
	v_pk_fma_f16 v59, v1, v57, v59
	v_pk_fma_f16 v53, v1, v58, v53
	v_pk_fma_f16 v60, v2, v57, v60
	v_pk_fma_f16 v54, v2, v58, v54
	v_pk_fma_f16 v61, v3, v57, v61
	v_pk_fma_f16 v55, v3, v58, v55
	v_pk_fma_f16 v62, v4, v57, v62
	v_pk_fma_f16 v56, v4, v58, v56
	s_waitcnt lgkmcnt(0)
	v_pk_fma_f16 v45, v41, v57, v45
	v_pk_fma_f16 v46, v41, v58, v46
	;; [unrolled: 1-line block ×8, first 2 shown]
	ds_read2_b64 v[1:4], v38 offset0:128 offset1:160
	ds_read2_b64 v[41:44], v38 offset0:192 offset1:224
	v_mul_u32_u24_sdwa v57, v66, s15 dst_sel:DWORD dst_unused:UNUSED_PAD src0_sel:WORD_0 src1_sel:DWORD
	v_mul_u32_u24_sdwa v58, v66, s15 dst_sel:DWORD dst_unused:UNUSED_PAD src0_sel:WORD_1 src1_sel:DWORD
	v_mul_u32_u24_sdwa v66, v68, s15 dst_sel:DWORD dst_unused:UNUSED_PAD src0_sel:WORD_1 src1_sel:DWORD
	s_waitcnt lgkmcnt(1)
	v_pk_fma_f16 v59, v1, v57, v59
	v_pk_fma_f16 v53, v1, v58, v53
	;; [unrolled: 1-line block ×8, first 2 shown]
	s_waitcnt lgkmcnt(0)
	v_pk_fma_f16 v45, v41, v57, v45
	v_pk_fma_f16 v46, v41, v58, v46
	;; [unrolled: 1-line block ×8, first 2 shown]
	ds_read2_b64 v[1:4], v39 offset1:32
	ds_read2_b64 v[41:44], v39 offset0:64 offset1:96
	v_mul_u32_u24_sdwa v57, v67, s15 dst_sel:DWORD dst_unused:UNUSED_PAD src0_sel:WORD_0 src1_sel:DWORD
	v_mul_u32_u24_sdwa v58, v67, s15 dst_sel:DWORD dst_unused:UNUSED_PAD src0_sel:WORD_1 src1_sel:DWORD
	s_waitcnt lgkmcnt(1)
	v_pk_fma_f16 v59, v1, v57, v59
	v_pk_fma_f16 v53, v1, v58, v53
	v_pk_fma_f16 v60, v2, v57, v60
	v_pk_fma_f16 v54, v2, v58, v54
	v_pk_fma_f16 v61, v3, v57, v61
	v_pk_fma_f16 v55, v3, v58, v55
	v_pk_fma_f16 v62, v4, v57, v62
	v_pk_fma_f16 v56, v4, v58, v56
	s_waitcnt lgkmcnt(0)
	v_pk_fma_f16 v45, v41, v57, v45
	v_pk_fma_f16 v46, v41, v58, v46
	v_pk_fma_f16 v47, v42, v57, v47
	v_pk_fma_f16 v48, v42, v58, v48
	v_pk_fma_f16 v63, v43, v57, v49
	v_pk_fma_f16 v64, v43, v58, v50
	v_pk_fma_f16 v57, v44, v57, v51
	v_pk_fma_f16 v58, v44, v58, v52
	ds_read2_b64 v[41:44], v39 offset0:128 offset1:160
	ds_read2_b64 v[49:52], v39 offset0:192 offset1:224
	s_waitcnt lgkmcnt(0)
	s_barrier
	v_pk_fma_f16 v2, v41, v66, v53
	v_pk_fma_f16 v45, v49, v65, v45
	;; [unrolled: 1-line block ×8, first 2 shown]
	v_add_co_u32_e32 v57, vcc, s18, v31
	v_mov_b32_e32 v53, s19
	v_pk_fma_f16 v52, v52, v66, v58
	v_addc_co_u32_e32 v58, vcc, v32, v53, vcc
	v_pk_fma_f16 v1, v41, v65, v59
	v_pk_fma_f16 v3, v42, v65, v60
	;; [unrolled: 1-line block ×7, first 2 shown]
	global_load_dwordx4 v[53:56], v[57:58], off
	s_or_b32 s18, s6, 24
	s_mul_hi_i32 s19, s18, s8
	s_mul_i32 s18, s18, s8
	s_lshl_b64 s[18:19], s[18:19], 2
	s_waitcnt vmcnt(0)
	ds_write_b128 v28, v[53:56]
	global_load_dwordx4 v[53:56], v[57:58], off offset:512
	s_waitcnt vmcnt(0)
	ds_write_b128 v29, v[53:56]
	s_waitcnt lgkmcnt(0)
	s_barrier
	ds_read2_b64 v[53:56], v30 offset1:32
	ds_read2_b64 v[57:60], v30 offset0:64 offset1:96
	ds_read_b128 v[61:64], v27 offset:64
	ds_read_b128 v[65:68], v27 offset:80
	s_waitcnt lgkmcnt(1)
	v_mul_u32_u24_sdwa v69, v61, s15 dst_sel:DWORD dst_unused:UNUSED_PAD src0_sel:WORD_0 src1_sel:DWORD
	v_mul_u32_u24_sdwa v61, v61, s15 dst_sel:DWORD dst_unused:UNUSED_PAD src0_sel:WORD_1 src1_sel:DWORD
	v_pk_fma_f16 v70, v53, v69, v1
	v_pk_fma_f16 v53, v53, v61, v2
	;; [unrolled: 1-line block ×8, first 2 shown]
	ds_read2_b64 v[1:4], v30 offset0:128 offset1:160
	ds_read2_b64 v[41:44], v30 offset0:192 offset1:224
	v_pk_fma_f16 v45, v57, v69, v45
	v_pk_fma_f16 v46, v57, v61, v46
	;; [unrolled: 1-line block ×8, first 2 shown]
	v_mul_u32_u24_sdwa v57, v62, s15 dst_sel:DWORD dst_unused:UNUSED_PAD src0_sel:WORD_0 src1_sel:DWORD
	v_mul_u32_u24_sdwa v58, v62, s15 dst_sel:DWORD dst_unused:UNUSED_PAD src0_sel:WORD_1 src1_sel:DWORD
	s_waitcnt lgkmcnt(1)
	v_pk_fma_f16 v59, v1, v57, v70
	v_pk_fma_f16 v53, v1, v58, v53
	;; [unrolled: 1-line block ×8, first 2 shown]
	s_waitcnt lgkmcnt(0)
	v_pk_fma_f16 v45, v41, v57, v45
	v_pk_fma_f16 v46, v41, v58, v46
	;; [unrolled: 1-line block ×8, first 2 shown]
	ds_read2_b64 v[1:4], v37 offset1:32
	ds_read2_b64 v[41:44], v37 offset0:64 offset1:96
	v_mul_u32_u24_sdwa v57, v63, s15 dst_sel:DWORD dst_unused:UNUSED_PAD src0_sel:WORD_0 src1_sel:DWORD
	v_mul_u32_u24_sdwa v58, v63, s15 dst_sel:DWORD dst_unused:UNUSED_PAD src0_sel:WORD_1 src1_sel:DWORD
	s_waitcnt lgkmcnt(1)
	v_pk_fma_f16 v59, v1, v57, v59
	v_pk_fma_f16 v53, v1, v58, v53
	;; [unrolled: 1-line block ×8, first 2 shown]
	s_waitcnt lgkmcnt(0)
	v_pk_fma_f16 v45, v41, v57, v45
	v_pk_fma_f16 v46, v41, v58, v46
	;; [unrolled: 1-line block ×8, first 2 shown]
	ds_read2_b64 v[1:4], v37 offset0:128 offset1:160
	ds_read2_b64 v[41:44], v37 offset0:192 offset1:224
	v_mul_u32_u24_sdwa v57, v64, s15 dst_sel:DWORD dst_unused:UNUSED_PAD src0_sel:WORD_0 src1_sel:DWORD
	v_mul_u32_u24_sdwa v58, v64, s15 dst_sel:DWORD dst_unused:UNUSED_PAD src0_sel:WORD_1 src1_sel:DWORD
	s_waitcnt lgkmcnt(1)
	v_pk_fma_f16 v59, v1, v57, v59
	v_pk_fma_f16 v53, v1, v58, v53
	;; [unrolled: 1-line block ×8, first 2 shown]
	s_waitcnt lgkmcnt(0)
	v_pk_fma_f16 v45, v41, v57, v45
	v_pk_fma_f16 v46, v41, v58, v46
	;; [unrolled: 1-line block ×8, first 2 shown]
	ds_read2_b64 v[1:4], v38 offset1:32
	ds_read2_b64 v[41:44], v38 offset0:64 offset1:96
	v_mul_u32_u24_sdwa v57, v65, s15 dst_sel:DWORD dst_unused:UNUSED_PAD src0_sel:WORD_0 src1_sel:DWORD
	v_mul_u32_u24_sdwa v58, v65, s15 dst_sel:DWORD dst_unused:UNUSED_PAD src0_sel:WORD_1 src1_sel:DWORD
	v_mul_u32_u24_sdwa v65, v68, s15 dst_sel:DWORD dst_unused:UNUSED_PAD src0_sel:WORD_0 src1_sel:DWORD
	s_waitcnt lgkmcnt(1)
	v_pk_fma_f16 v59, v1, v57, v59
	v_pk_fma_f16 v53, v1, v58, v53
	;; [unrolled: 1-line block ×8, first 2 shown]
	s_waitcnt lgkmcnt(0)
	v_pk_fma_f16 v45, v41, v57, v45
	v_pk_fma_f16 v46, v41, v58, v46
	;; [unrolled: 1-line block ×8, first 2 shown]
	ds_read2_b64 v[1:4], v38 offset0:128 offset1:160
	ds_read2_b64 v[41:44], v38 offset0:192 offset1:224
	v_mul_u32_u24_sdwa v57, v66, s15 dst_sel:DWORD dst_unused:UNUSED_PAD src0_sel:WORD_0 src1_sel:DWORD
	v_mul_u32_u24_sdwa v58, v66, s15 dst_sel:DWORD dst_unused:UNUSED_PAD src0_sel:WORD_1 src1_sel:DWORD
	v_mul_u32_u24_sdwa v66, v68, s15 dst_sel:DWORD dst_unused:UNUSED_PAD src0_sel:WORD_1 src1_sel:DWORD
	s_waitcnt lgkmcnt(1)
	v_pk_fma_f16 v59, v1, v57, v59
	v_pk_fma_f16 v53, v1, v58, v53
	;; [unrolled: 1-line block ×8, first 2 shown]
	s_waitcnt lgkmcnt(0)
	v_pk_fma_f16 v45, v41, v57, v45
	v_pk_fma_f16 v46, v41, v58, v46
	v_pk_fma_f16 v47, v42, v57, v47
	v_pk_fma_f16 v48, v42, v58, v48
	v_pk_fma_f16 v49, v43, v57, v49
	v_pk_fma_f16 v50, v43, v58, v50
	v_pk_fma_f16 v51, v44, v57, v51
	v_pk_fma_f16 v52, v44, v58, v52
	ds_read2_b64 v[1:4], v39 offset1:32
	ds_read2_b64 v[41:44], v39 offset0:64 offset1:96
	v_mul_u32_u24_sdwa v57, v67, s15 dst_sel:DWORD dst_unused:UNUSED_PAD src0_sel:WORD_0 src1_sel:DWORD
	v_mul_u32_u24_sdwa v58, v67, s15 dst_sel:DWORD dst_unused:UNUSED_PAD src0_sel:WORD_1 src1_sel:DWORD
	s_waitcnt lgkmcnt(1)
	v_pk_fma_f16 v59, v1, v57, v59
	v_pk_fma_f16 v53, v1, v58, v53
	;; [unrolled: 1-line block ×8, first 2 shown]
	s_waitcnt lgkmcnt(0)
	v_pk_fma_f16 v45, v41, v57, v45
	v_pk_fma_f16 v46, v41, v58, v46
	;; [unrolled: 1-line block ×8, first 2 shown]
	ds_read2_b64 v[41:44], v39 offset0:128 offset1:160
	ds_read2_b64 v[49:52], v39 offset0:192 offset1:224
	s_waitcnt lgkmcnt(0)
	s_barrier
	v_pk_fma_f16 v2, v41, v66, v53
	v_pk_fma_f16 v45, v49, v65, v45
	;; [unrolled: 1-line block ×8, first 2 shown]
	v_add_co_u32_e32 v57, vcc, s18, v31
	v_mov_b32_e32 v53, s19
	v_pk_fma_f16 v52, v52, v66, v58
	v_addc_co_u32_e32 v58, vcc, v32, v53, vcc
	v_pk_fma_f16 v1, v41, v65, v59
	v_pk_fma_f16 v3, v42, v65, v60
	;; [unrolled: 1-line block ×7, first 2 shown]
	global_load_dwordx4 v[53:56], v[57:58], off
	s_or_b32 s18, s6, 32
	s_mul_hi_i32 s19, s18, s8
	s_mul_i32 s18, s18, s8
	s_lshl_b64 s[18:19], s[18:19], 2
	s_waitcnt vmcnt(0)
	ds_write_b128 v28, v[53:56]
	global_load_dwordx4 v[53:56], v[57:58], off offset:512
	s_waitcnt vmcnt(0)
	ds_write_b128 v29, v[53:56]
	s_waitcnt lgkmcnt(0)
	s_barrier
	ds_read2_b64 v[53:56], v30 offset1:32
	ds_read2_b64 v[57:60], v30 offset0:64 offset1:96
	ds_read_b128 v[61:64], v27 offset:96
	ds_read_b128 v[65:68], v27 offset:112
	s_waitcnt lgkmcnt(1)
	v_mul_u32_u24_sdwa v69, v61, s15 dst_sel:DWORD dst_unused:UNUSED_PAD src0_sel:WORD_0 src1_sel:DWORD
	v_mul_u32_u24_sdwa v61, v61, s15 dst_sel:DWORD dst_unused:UNUSED_PAD src0_sel:WORD_1 src1_sel:DWORD
	v_pk_fma_f16 v70, v53, v69, v1
	v_pk_fma_f16 v53, v53, v61, v2
	;; [unrolled: 1-line block ×8, first 2 shown]
	ds_read2_b64 v[1:4], v30 offset0:128 offset1:160
	ds_read2_b64 v[41:44], v30 offset0:192 offset1:224
	v_pk_fma_f16 v45, v57, v69, v45
	v_pk_fma_f16 v46, v57, v61, v46
	;; [unrolled: 1-line block ×8, first 2 shown]
	v_mul_u32_u24_sdwa v57, v62, s15 dst_sel:DWORD dst_unused:UNUSED_PAD src0_sel:WORD_0 src1_sel:DWORD
	v_mul_u32_u24_sdwa v58, v62, s15 dst_sel:DWORD dst_unused:UNUSED_PAD src0_sel:WORD_1 src1_sel:DWORD
	s_waitcnt lgkmcnt(1)
	v_pk_fma_f16 v59, v1, v57, v70
	v_pk_fma_f16 v53, v1, v58, v53
	;; [unrolled: 1-line block ×8, first 2 shown]
	s_waitcnt lgkmcnt(0)
	v_pk_fma_f16 v45, v41, v57, v45
	v_pk_fma_f16 v46, v41, v58, v46
	;; [unrolled: 1-line block ×8, first 2 shown]
	ds_read2_b64 v[1:4], v37 offset1:32
	ds_read2_b64 v[41:44], v37 offset0:64 offset1:96
	v_mul_u32_u24_sdwa v57, v63, s15 dst_sel:DWORD dst_unused:UNUSED_PAD src0_sel:WORD_0 src1_sel:DWORD
	v_mul_u32_u24_sdwa v58, v63, s15 dst_sel:DWORD dst_unused:UNUSED_PAD src0_sel:WORD_1 src1_sel:DWORD
	s_waitcnt lgkmcnt(1)
	v_pk_fma_f16 v59, v1, v57, v59
	v_pk_fma_f16 v53, v1, v58, v53
	;; [unrolled: 1-line block ×8, first 2 shown]
	s_waitcnt lgkmcnt(0)
	v_pk_fma_f16 v45, v41, v57, v45
	v_pk_fma_f16 v46, v41, v58, v46
	;; [unrolled: 1-line block ×8, first 2 shown]
	ds_read2_b64 v[1:4], v37 offset0:128 offset1:160
	ds_read2_b64 v[41:44], v37 offset0:192 offset1:224
	v_mul_u32_u24_sdwa v57, v64, s15 dst_sel:DWORD dst_unused:UNUSED_PAD src0_sel:WORD_0 src1_sel:DWORD
	v_mul_u32_u24_sdwa v58, v64, s15 dst_sel:DWORD dst_unused:UNUSED_PAD src0_sel:WORD_1 src1_sel:DWORD
	s_waitcnt lgkmcnt(1)
	v_pk_fma_f16 v59, v1, v57, v59
	v_pk_fma_f16 v53, v1, v58, v53
	;; [unrolled: 1-line block ×8, first 2 shown]
	s_waitcnt lgkmcnt(0)
	v_pk_fma_f16 v45, v41, v57, v45
	v_pk_fma_f16 v46, v41, v58, v46
	;; [unrolled: 1-line block ×8, first 2 shown]
	ds_read2_b64 v[1:4], v38 offset1:32
	ds_read2_b64 v[41:44], v38 offset0:64 offset1:96
	v_mul_u32_u24_sdwa v57, v65, s15 dst_sel:DWORD dst_unused:UNUSED_PAD src0_sel:WORD_0 src1_sel:DWORD
	v_mul_u32_u24_sdwa v58, v65, s15 dst_sel:DWORD dst_unused:UNUSED_PAD src0_sel:WORD_1 src1_sel:DWORD
	v_mul_u32_u24_sdwa v65, v68, s15 dst_sel:DWORD dst_unused:UNUSED_PAD src0_sel:WORD_0 src1_sel:DWORD
	s_waitcnt lgkmcnt(1)
	v_pk_fma_f16 v59, v1, v57, v59
	v_pk_fma_f16 v53, v1, v58, v53
	;; [unrolled: 1-line block ×8, first 2 shown]
	s_waitcnt lgkmcnt(0)
	v_pk_fma_f16 v45, v41, v57, v45
	v_pk_fma_f16 v46, v41, v58, v46
	;; [unrolled: 1-line block ×8, first 2 shown]
	ds_read2_b64 v[1:4], v38 offset0:128 offset1:160
	ds_read2_b64 v[41:44], v38 offset0:192 offset1:224
	v_mul_u32_u24_sdwa v57, v66, s15 dst_sel:DWORD dst_unused:UNUSED_PAD src0_sel:WORD_0 src1_sel:DWORD
	v_mul_u32_u24_sdwa v58, v66, s15 dst_sel:DWORD dst_unused:UNUSED_PAD src0_sel:WORD_1 src1_sel:DWORD
	v_mul_u32_u24_sdwa v66, v68, s15 dst_sel:DWORD dst_unused:UNUSED_PAD src0_sel:WORD_1 src1_sel:DWORD
	s_waitcnt lgkmcnt(1)
	v_pk_fma_f16 v59, v1, v57, v59
	v_pk_fma_f16 v53, v1, v58, v53
	;; [unrolled: 1-line block ×8, first 2 shown]
	s_waitcnt lgkmcnt(0)
	v_pk_fma_f16 v45, v41, v57, v45
	v_pk_fma_f16 v46, v41, v58, v46
	;; [unrolled: 1-line block ×8, first 2 shown]
	ds_read2_b64 v[1:4], v39 offset1:32
	ds_read2_b64 v[41:44], v39 offset0:64 offset1:96
	v_mul_u32_u24_sdwa v57, v67, s15 dst_sel:DWORD dst_unused:UNUSED_PAD src0_sel:WORD_0 src1_sel:DWORD
	v_mul_u32_u24_sdwa v58, v67, s15 dst_sel:DWORD dst_unused:UNUSED_PAD src0_sel:WORD_1 src1_sel:DWORD
	s_waitcnt lgkmcnt(1)
	v_pk_fma_f16 v59, v1, v57, v59
	v_pk_fma_f16 v53, v1, v58, v53
	;; [unrolled: 1-line block ×8, first 2 shown]
	s_waitcnt lgkmcnt(0)
	v_pk_fma_f16 v45, v41, v57, v45
	v_pk_fma_f16 v46, v41, v58, v46
	v_pk_fma_f16 v47, v42, v57, v47
	v_pk_fma_f16 v48, v42, v58, v48
	v_pk_fma_f16 v63, v43, v57, v49
	v_pk_fma_f16 v64, v43, v58, v50
	v_pk_fma_f16 v57, v44, v57, v51
	v_pk_fma_f16 v58, v44, v58, v52
	ds_read2_b64 v[41:44], v39 offset0:128 offset1:160
	ds_read2_b64 v[49:52], v39 offset0:192 offset1:224
	s_waitcnt lgkmcnt(0)
	s_barrier
	v_pk_fma_f16 v2, v41, v66, v53
	v_pk_fma_f16 v45, v49, v65, v45
	;; [unrolled: 1-line block ×8, first 2 shown]
	v_add_co_u32_e32 v57, vcc, s18, v31
	v_mov_b32_e32 v53, s19
	v_pk_fma_f16 v52, v52, v66, v58
	v_addc_co_u32_e32 v58, vcc, v32, v53, vcc
	v_pk_fma_f16 v1, v41, v65, v59
	v_pk_fma_f16 v3, v42, v65, v60
	;; [unrolled: 1-line block ×7, first 2 shown]
	global_load_dwordx4 v[53:56], v[57:58], off
	s_or_b32 s18, s6, 40
	s_mul_hi_i32 s19, s18, s8
	s_mul_i32 s18, s18, s8
	s_lshl_b64 s[18:19], s[18:19], 2
	s_waitcnt vmcnt(0)
	ds_write_b128 v28, v[53:56]
	global_load_dwordx4 v[53:56], v[57:58], off offset:512
	s_waitcnt vmcnt(0)
	ds_write_b128 v29, v[53:56]
	s_waitcnt lgkmcnt(0)
	s_barrier
	ds_read2_b64 v[53:56], v30 offset1:32
	ds_read2_b64 v[57:60], v30 offset0:64 offset1:96
	ds_read_b128 v[61:64], v27 offset:128
	ds_read_b128 v[65:68], v27 offset:144
	s_waitcnt lgkmcnt(1)
	v_mul_u32_u24_sdwa v69, v61, s15 dst_sel:DWORD dst_unused:UNUSED_PAD src0_sel:WORD_0 src1_sel:DWORD
	v_mul_u32_u24_sdwa v61, v61, s15 dst_sel:DWORD dst_unused:UNUSED_PAD src0_sel:WORD_1 src1_sel:DWORD
	v_pk_fma_f16 v70, v53, v69, v1
	v_pk_fma_f16 v53, v53, v61, v2
	;; [unrolled: 1-line block ×8, first 2 shown]
	ds_read2_b64 v[1:4], v30 offset0:128 offset1:160
	ds_read2_b64 v[41:44], v30 offset0:192 offset1:224
	v_pk_fma_f16 v45, v57, v69, v45
	v_pk_fma_f16 v46, v57, v61, v46
	;; [unrolled: 1-line block ×8, first 2 shown]
	v_mul_u32_u24_sdwa v57, v62, s15 dst_sel:DWORD dst_unused:UNUSED_PAD src0_sel:WORD_0 src1_sel:DWORD
	v_mul_u32_u24_sdwa v58, v62, s15 dst_sel:DWORD dst_unused:UNUSED_PAD src0_sel:WORD_1 src1_sel:DWORD
	s_waitcnt lgkmcnt(1)
	v_pk_fma_f16 v59, v1, v57, v70
	v_pk_fma_f16 v53, v1, v58, v53
	;; [unrolled: 1-line block ×8, first 2 shown]
	s_waitcnt lgkmcnt(0)
	v_pk_fma_f16 v45, v41, v57, v45
	v_pk_fma_f16 v46, v41, v58, v46
	v_pk_fma_f16 v47, v42, v57, v47
	v_pk_fma_f16 v48, v42, v58, v48
	v_pk_fma_f16 v49, v43, v57, v49
	v_pk_fma_f16 v50, v43, v58, v50
	v_pk_fma_f16 v51, v44, v57, v51
	v_pk_fma_f16 v52, v44, v58, v52
	ds_read2_b64 v[1:4], v37 offset1:32
	ds_read2_b64 v[41:44], v37 offset0:64 offset1:96
	v_mul_u32_u24_sdwa v57, v63, s15 dst_sel:DWORD dst_unused:UNUSED_PAD src0_sel:WORD_0 src1_sel:DWORD
	v_mul_u32_u24_sdwa v58, v63, s15 dst_sel:DWORD dst_unused:UNUSED_PAD src0_sel:WORD_1 src1_sel:DWORD
	s_waitcnt lgkmcnt(1)
	v_pk_fma_f16 v59, v1, v57, v59
	v_pk_fma_f16 v53, v1, v58, v53
	;; [unrolled: 1-line block ×8, first 2 shown]
	s_waitcnt lgkmcnt(0)
	v_pk_fma_f16 v45, v41, v57, v45
	v_pk_fma_f16 v46, v41, v58, v46
	;; [unrolled: 1-line block ×8, first 2 shown]
	ds_read2_b64 v[1:4], v37 offset0:128 offset1:160
	ds_read2_b64 v[41:44], v37 offset0:192 offset1:224
	v_mul_u32_u24_sdwa v57, v64, s15 dst_sel:DWORD dst_unused:UNUSED_PAD src0_sel:WORD_0 src1_sel:DWORD
	v_mul_u32_u24_sdwa v58, v64, s15 dst_sel:DWORD dst_unused:UNUSED_PAD src0_sel:WORD_1 src1_sel:DWORD
	s_waitcnt lgkmcnt(1)
	v_pk_fma_f16 v59, v1, v57, v59
	v_pk_fma_f16 v53, v1, v58, v53
	;; [unrolled: 1-line block ×8, first 2 shown]
	s_waitcnt lgkmcnt(0)
	v_pk_fma_f16 v45, v41, v57, v45
	v_pk_fma_f16 v46, v41, v58, v46
	;; [unrolled: 1-line block ×8, first 2 shown]
	ds_read2_b64 v[1:4], v38 offset1:32
	ds_read2_b64 v[41:44], v38 offset0:64 offset1:96
	v_mul_u32_u24_sdwa v57, v65, s15 dst_sel:DWORD dst_unused:UNUSED_PAD src0_sel:WORD_0 src1_sel:DWORD
	v_mul_u32_u24_sdwa v58, v65, s15 dst_sel:DWORD dst_unused:UNUSED_PAD src0_sel:WORD_1 src1_sel:DWORD
	v_mul_u32_u24_sdwa v65, v68, s15 dst_sel:DWORD dst_unused:UNUSED_PAD src0_sel:WORD_0 src1_sel:DWORD
	s_waitcnt lgkmcnt(1)
	v_pk_fma_f16 v59, v1, v57, v59
	v_pk_fma_f16 v53, v1, v58, v53
	;; [unrolled: 1-line block ×8, first 2 shown]
	s_waitcnt lgkmcnt(0)
	v_pk_fma_f16 v45, v41, v57, v45
	v_pk_fma_f16 v46, v41, v58, v46
	;; [unrolled: 1-line block ×8, first 2 shown]
	ds_read2_b64 v[1:4], v38 offset0:128 offset1:160
	ds_read2_b64 v[41:44], v38 offset0:192 offset1:224
	v_mul_u32_u24_sdwa v57, v66, s15 dst_sel:DWORD dst_unused:UNUSED_PAD src0_sel:WORD_0 src1_sel:DWORD
	v_mul_u32_u24_sdwa v58, v66, s15 dst_sel:DWORD dst_unused:UNUSED_PAD src0_sel:WORD_1 src1_sel:DWORD
	v_mul_u32_u24_sdwa v66, v68, s15 dst_sel:DWORD dst_unused:UNUSED_PAD src0_sel:WORD_1 src1_sel:DWORD
	s_waitcnt lgkmcnt(1)
	v_pk_fma_f16 v59, v1, v57, v59
	v_pk_fma_f16 v53, v1, v58, v53
	v_pk_fma_f16 v60, v2, v57, v60
	v_pk_fma_f16 v54, v2, v58, v54
	v_pk_fma_f16 v61, v3, v57, v61
	v_pk_fma_f16 v55, v3, v58, v55
	v_pk_fma_f16 v62, v4, v57, v62
	v_pk_fma_f16 v56, v4, v58, v56
	s_waitcnt lgkmcnt(0)
	v_pk_fma_f16 v45, v41, v57, v45
	v_pk_fma_f16 v46, v41, v58, v46
	;; [unrolled: 1-line block ×8, first 2 shown]
	ds_read2_b64 v[1:4], v39 offset1:32
	ds_read2_b64 v[41:44], v39 offset0:64 offset1:96
	v_mul_u32_u24_sdwa v57, v67, s15 dst_sel:DWORD dst_unused:UNUSED_PAD src0_sel:WORD_0 src1_sel:DWORD
	v_mul_u32_u24_sdwa v58, v67, s15 dst_sel:DWORD dst_unused:UNUSED_PAD src0_sel:WORD_1 src1_sel:DWORD
	s_waitcnt lgkmcnt(1)
	v_pk_fma_f16 v59, v1, v57, v59
	v_pk_fma_f16 v53, v1, v58, v53
	;; [unrolled: 1-line block ×8, first 2 shown]
	s_waitcnt lgkmcnt(0)
	v_pk_fma_f16 v45, v41, v57, v45
	v_pk_fma_f16 v46, v41, v58, v46
	v_pk_fma_f16 v47, v42, v57, v47
	v_pk_fma_f16 v48, v42, v58, v48
	v_pk_fma_f16 v63, v43, v57, v49
	v_pk_fma_f16 v64, v43, v58, v50
	v_pk_fma_f16 v57, v44, v57, v51
	v_pk_fma_f16 v58, v44, v58, v52
	ds_read2_b64 v[41:44], v39 offset0:128 offset1:160
	ds_read2_b64 v[49:52], v39 offset0:192 offset1:224
	s_waitcnt lgkmcnt(0)
	s_barrier
	v_pk_fma_f16 v2, v41, v66, v53
	v_pk_fma_f16 v45, v49, v65, v45
	;; [unrolled: 1-line block ×8, first 2 shown]
	v_add_co_u32_e32 v57, vcc, s18, v31
	v_mov_b32_e32 v53, s19
	v_pk_fma_f16 v52, v52, v66, v58
	v_addc_co_u32_e32 v58, vcc, v32, v53, vcc
	v_pk_fma_f16 v1, v41, v65, v59
	v_pk_fma_f16 v3, v42, v65, v60
	;; [unrolled: 1-line block ×7, first 2 shown]
	global_load_dwordx4 v[53:56], v[57:58], off
	s_or_b32 s18, s6, 48
	s_mul_hi_i32 s19, s18, s8
	s_mul_i32 s18, s18, s8
	s_lshl_b64 s[18:19], s[18:19], 2
	s_waitcnt vmcnt(0)
	ds_write_b128 v28, v[53:56]
	global_load_dwordx4 v[53:56], v[57:58], off offset:512
	s_waitcnt vmcnt(0)
	ds_write_b128 v29, v[53:56]
	s_waitcnt lgkmcnt(0)
	s_barrier
	ds_read2_b64 v[53:56], v30 offset1:32
	ds_read2_b64 v[57:60], v30 offset0:64 offset1:96
	ds_read_b128 v[61:64], v27 offset:160
	ds_read_b128 v[65:68], v27 offset:176
	s_waitcnt lgkmcnt(1)
	v_mul_u32_u24_sdwa v69, v61, s15 dst_sel:DWORD dst_unused:UNUSED_PAD src0_sel:WORD_0 src1_sel:DWORD
	v_mul_u32_u24_sdwa v61, v61, s15 dst_sel:DWORD dst_unused:UNUSED_PAD src0_sel:WORD_1 src1_sel:DWORD
	v_pk_fma_f16 v70, v53, v69, v1
	v_pk_fma_f16 v53, v53, v61, v2
	;; [unrolled: 1-line block ×8, first 2 shown]
	ds_read2_b64 v[1:4], v30 offset0:128 offset1:160
	ds_read2_b64 v[41:44], v30 offset0:192 offset1:224
	v_pk_fma_f16 v45, v57, v69, v45
	v_pk_fma_f16 v46, v57, v61, v46
	v_pk_fma_f16 v47, v58, v69, v47
	v_pk_fma_f16 v48, v58, v61, v48
	v_pk_fma_f16 v49, v59, v69, v49
	v_pk_fma_f16 v50, v59, v61, v50
	v_pk_fma_f16 v51, v60, v69, v51
	v_pk_fma_f16 v52, v60, v61, v52
	v_mul_u32_u24_sdwa v57, v62, s15 dst_sel:DWORD dst_unused:UNUSED_PAD src0_sel:WORD_0 src1_sel:DWORD
	v_mul_u32_u24_sdwa v58, v62, s15 dst_sel:DWORD dst_unused:UNUSED_PAD src0_sel:WORD_1 src1_sel:DWORD
	s_waitcnt lgkmcnt(1)
	v_pk_fma_f16 v59, v1, v57, v70
	v_pk_fma_f16 v53, v1, v58, v53
	;; [unrolled: 1-line block ×8, first 2 shown]
	s_waitcnt lgkmcnt(0)
	v_pk_fma_f16 v45, v41, v57, v45
	v_pk_fma_f16 v46, v41, v58, v46
	;; [unrolled: 1-line block ×8, first 2 shown]
	ds_read2_b64 v[1:4], v37 offset1:32
	ds_read2_b64 v[41:44], v37 offset0:64 offset1:96
	v_mul_u32_u24_sdwa v57, v63, s15 dst_sel:DWORD dst_unused:UNUSED_PAD src0_sel:WORD_0 src1_sel:DWORD
	v_mul_u32_u24_sdwa v58, v63, s15 dst_sel:DWORD dst_unused:UNUSED_PAD src0_sel:WORD_1 src1_sel:DWORD
	s_waitcnt lgkmcnt(1)
	v_pk_fma_f16 v59, v1, v57, v59
	v_pk_fma_f16 v53, v1, v58, v53
	;; [unrolled: 1-line block ×8, first 2 shown]
	s_waitcnt lgkmcnt(0)
	v_pk_fma_f16 v45, v41, v57, v45
	v_pk_fma_f16 v46, v41, v58, v46
	v_pk_fma_f16 v47, v42, v57, v47
	v_pk_fma_f16 v48, v42, v58, v48
	v_pk_fma_f16 v49, v43, v57, v49
	v_pk_fma_f16 v50, v43, v58, v50
	v_pk_fma_f16 v51, v44, v57, v51
	v_pk_fma_f16 v52, v44, v58, v52
	ds_read2_b64 v[1:4], v37 offset0:128 offset1:160
	ds_read2_b64 v[41:44], v37 offset0:192 offset1:224
	v_mul_u32_u24_sdwa v57, v64, s15 dst_sel:DWORD dst_unused:UNUSED_PAD src0_sel:WORD_0 src1_sel:DWORD
	v_mul_u32_u24_sdwa v58, v64, s15 dst_sel:DWORD dst_unused:UNUSED_PAD src0_sel:WORD_1 src1_sel:DWORD
	s_waitcnt lgkmcnt(1)
	v_pk_fma_f16 v59, v1, v57, v59
	v_pk_fma_f16 v53, v1, v58, v53
	;; [unrolled: 1-line block ×8, first 2 shown]
	s_waitcnt lgkmcnt(0)
	v_pk_fma_f16 v45, v41, v57, v45
	v_pk_fma_f16 v46, v41, v58, v46
	v_pk_fma_f16 v47, v42, v57, v47
	v_pk_fma_f16 v48, v42, v58, v48
	v_pk_fma_f16 v49, v43, v57, v49
	v_pk_fma_f16 v50, v43, v58, v50
	v_pk_fma_f16 v51, v44, v57, v51
	v_pk_fma_f16 v52, v44, v58, v52
	ds_read2_b64 v[1:4], v38 offset1:32
	ds_read2_b64 v[41:44], v38 offset0:64 offset1:96
	v_mul_u32_u24_sdwa v57, v65, s15 dst_sel:DWORD dst_unused:UNUSED_PAD src0_sel:WORD_0 src1_sel:DWORD
	v_mul_u32_u24_sdwa v58, v65, s15 dst_sel:DWORD dst_unused:UNUSED_PAD src0_sel:WORD_1 src1_sel:DWORD
	v_mul_u32_u24_sdwa v65, v68, s15 dst_sel:DWORD dst_unused:UNUSED_PAD src0_sel:WORD_0 src1_sel:DWORD
	s_waitcnt lgkmcnt(1)
	v_pk_fma_f16 v59, v1, v57, v59
	v_pk_fma_f16 v53, v1, v58, v53
	;; [unrolled: 1-line block ×8, first 2 shown]
	s_waitcnt lgkmcnt(0)
	v_pk_fma_f16 v45, v41, v57, v45
	v_pk_fma_f16 v46, v41, v58, v46
	;; [unrolled: 1-line block ×8, first 2 shown]
	ds_read2_b64 v[1:4], v38 offset0:128 offset1:160
	ds_read2_b64 v[41:44], v38 offset0:192 offset1:224
	v_mul_u32_u24_sdwa v57, v66, s15 dst_sel:DWORD dst_unused:UNUSED_PAD src0_sel:WORD_0 src1_sel:DWORD
	v_mul_u32_u24_sdwa v58, v66, s15 dst_sel:DWORD dst_unused:UNUSED_PAD src0_sel:WORD_1 src1_sel:DWORD
	v_mul_u32_u24_sdwa v66, v68, s15 dst_sel:DWORD dst_unused:UNUSED_PAD src0_sel:WORD_1 src1_sel:DWORD
	s_waitcnt lgkmcnt(1)
	v_pk_fma_f16 v59, v1, v57, v59
	v_pk_fma_f16 v53, v1, v58, v53
	;; [unrolled: 1-line block ×8, first 2 shown]
	s_waitcnt lgkmcnt(0)
	v_pk_fma_f16 v45, v41, v57, v45
	v_pk_fma_f16 v46, v41, v58, v46
	;; [unrolled: 1-line block ×8, first 2 shown]
	ds_read2_b64 v[1:4], v39 offset1:32
	ds_read2_b64 v[41:44], v39 offset0:64 offset1:96
	v_mul_u32_u24_sdwa v57, v67, s15 dst_sel:DWORD dst_unused:UNUSED_PAD src0_sel:WORD_0 src1_sel:DWORD
	v_mul_u32_u24_sdwa v58, v67, s15 dst_sel:DWORD dst_unused:UNUSED_PAD src0_sel:WORD_1 src1_sel:DWORD
	s_waitcnt lgkmcnt(1)
	v_pk_fma_f16 v59, v1, v57, v59
	v_pk_fma_f16 v53, v1, v58, v53
	;; [unrolled: 1-line block ×8, first 2 shown]
	s_waitcnt lgkmcnt(0)
	v_pk_fma_f16 v45, v41, v57, v45
	v_pk_fma_f16 v46, v41, v58, v46
	;; [unrolled: 1-line block ×8, first 2 shown]
	ds_read2_b64 v[41:44], v39 offset0:128 offset1:160
	ds_read2_b64 v[49:52], v39 offset0:192 offset1:224
	s_waitcnt lgkmcnt(0)
	s_barrier
	v_pk_fma_f16 v2, v41, v66, v53
	v_pk_fma_f16 v45, v49, v65, v45
	;; [unrolled: 1-line block ×8, first 2 shown]
	v_add_co_u32_e32 v57, vcc, s18, v31
	v_mov_b32_e32 v53, s19
	v_pk_fma_f16 v52, v52, v66, v58
	v_addc_co_u32_e32 v58, vcc, v32, v53, vcc
	v_pk_fma_f16 v1, v41, v65, v59
	v_pk_fma_f16 v3, v42, v65, v60
	;; [unrolled: 1-line block ×7, first 2 shown]
	global_load_dwordx4 v[53:56], v[57:58], off
	s_or_b32 s18, s6, 56
	s_mul_hi_i32 s19, s18, s8
	s_mul_i32 s18, s18, s8
	s_lshl_b64 s[18:19], s[18:19], 2
	s_waitcnt vmcnt(0)
	ds_write_b128 v28, v[53:56]
	global_load_dwordx4 v[53:56], v[57:58], off offset:512
	s_waitcnt vmcnt(0)
	ds_write_b128 v29, v[53:56]
	s_waitcnt lgkmcnt(0)
	s_barrier
	ds_read2_b64 v[53:56], v30 offset1:32
	ds_read2_b64 v[57:60], v30 offset0:64 offset1:96
	ds_read_b128 v[61:64], v27 offset:192
	ds_read_b128 v[65:68], v27 offset:208
	s_waitcnt lgkmcnt(1)
	v_mul_u32_u24_sdwa v69, v61, s15 dst_sel:DWORD dst_unused:UNUSED_PAD src0_sel:WORD_0 src1_sel:DWORD
	v_mul_u32_u24_sdwa v61, v61, s15 dst_sel:DWORD dst_unused:UNUSED_PAD src0_sel:WORD_1 src1_sel:DWORD
	v_pk_fma_f16 v70, v53, v69, v1
	v_pk_fma_f16 v53, v53, v61, v2
	;; [unrolled: 1-line block ×8, first 2 shown]
	ds_read2_b64 v[1:4], v30 offset0:128 offset1:160
	ds_read2_b64 v[41:44], v30 offset0:192 offset1:224
	v_pk_fma_f16 v45, v57, v69, v45
	v_pk_fma_f16 v46, v57, v61, v46
	;; [unrolled: 1-line block ×8, first 2 shown]
	v_mul_u32_u24_sdwa v57, v62, s15 dst_sel:DWORD dst_unused:UNUSED_PAD src0_sel:WORD_0 src1_sel:DWORD
	v_mul_u32_u24_sdwa v58, v62, s15 dst_sel:DWORD dst_unused:UNUSED_PAD src0_sel:WORD_1 src1_sel:DWORD
	s_waitcnt lgkmcnt(1)
	v_pk_fma_f16 v59, v1, v57, v70
	v_pk_fma_f16 v53, v1, v58, v53
	;; [unrolled: 1-line block ×8, first 2 shown]
	s_waitcnt lgkmcnt(0)
	v_pk_fma_f16 v45, v41, v57, v45
	v_pk_fma_f16 v46, v41, v58, v46
	;; [unrolled: 1-line block ×8, first 2 shown]
	ds_read2_b64 v[1:4], v37 offset1:32
	ds_read2_b64 v[41:44], v37 offset0:64 offset1:96
	v_mul_u32_u24_sdwa v57, v63, s15 dst_sel:DWORD dst_unused:UNUSED_PAD src0_sel:WORD_0 src1_sel:DWORD
	v_mul_u32_u24_sdwa v58, v63, s15 dst_sel:DWORD dst_unused:UNUSED_PAD src0_sel:WORD_1 src1_sel:DWORD
	v_mul_u32_u24_sdwa v74, v68, s15 dst_sel:DWORD dst_unused:UNUSED_PAD src0_sel:WORD_0 src1_sel:DWORD
	s_waitcnt lgkmcnt(1)
	v_pk_fma_f16 v59, v1, v57, v59
	v_pk_fma_f16 v53, v1, v58, v53
	v_pk_fma_f16 v60, v2, v57, v60
	v_pk_fma_f16 v54, v2, v58, v54
	v_pk_fma_f16 v61, v3, v57, v61
	v_pk_fma_f16 v55, v3, v58, v55
	v_pk_fma_f16 v62, v4, v57, v62
	v_pk_fma_f16 v56, v4, v58, v56
	s_waitcnt lgkmcnt(0)
	v_pk_fma_f16 v45, v41, v57, v45
	v_pk_fma_f16 v46, v41, v58, v46
	;; [unrolled: 1-line block ×8, first 2 shown]
	ds_read2_b64 v[1:4], v37 offset0:128 offset1:160
	ds_read2_b64 v[41:44], v37 offset0:192 offset1:224
	v_mul_u32_u24_sdwa v57, v64, s15 dst_sel:DWORD dst_unused:UNUSED_PAD src0_sel:WORD_0 src1_sel:DWORD
	v_mul_u32_u24_sdwa v58, v64, s15 dst_sel:DWORD dst_unused:UNUSED_PAD src0_sel:WORD_1 src1_sel:DWORD
	v_mul_u32_u24_sdwa v68, v68, s15 dst_sel:DWORD dst_unused:UNUSED_PAD src0_sel:WORD_1 src1_sel:DWORD
	s_waitcnt lgkmcnt(1)
	v_pk_fma_f16 v59, v1, v57, v59
	v_pk_fma_f16 v53, v1, v58, v53
	;; [unrolled: 1-line block ×8, first 2 shown]
	s_waitcnt lgkmcnt(0)
	v_pk_fma_f16 v45, v41, v57, v45
	v_pk_fma_f16 v46, v41, v58, v46
	;; [unrolled: 1-line block ×8, first 2 shown]
	ds_read2_b64 v[1:4], v38 offset1:32
	ds_read2_b64 v[41:44], v38 offset0:64 offset1:96
	v_mul_u32_u24_sdwa v57, v65, s15 dst_sel:DWORD dst_unused:UNUSED_PAD src0_sel:WORD_0 src1_sel:DWORD
	v_mul_u32_u24_sdwa v58, v65, s15 dst_sel:DWORD dst_unused:UNUSED_PAD src0_sel:WORD_1 src1_sel:DWORD
	s_waitcnt lgkmcnt(1)
	v_pk_fma_f16 v59, v1, v57, v59
	v_pk_fma_f16 v53, v1, v58, v53
	;; [unrolled: 1-line block ×8, first 2 shown]
	s_waitcnt lgkmcnt(0)
	v_pk_fma_f16 v45, v41, v57, v45
	v_pk_fma_f16 v46, v41, v58, v46
	;; [unrolled: 1-line block ×8, first 2 shown]
	ds_read2_b64 v[1:4], v38 offset0:128 offset1:160
	ds_read2_b64 v[41:44], v38 offset0:192 offset1:224
	v_mul_u32_u24_sdwa v57, v66, s15 dst_sel:DWORD dst_unused:UNUSED_PAD src0_sel:WORD_0 src1_sel:DWORD
	v_mul_u32_u24_sdwa v58, v66, s15 dst_sel:DWORD dst_unused:UNUSED_PAD src0_sel:WORD_1 src1_sel:DWORD
	s_waitcnt lgkmcnt(1)
	v_pk_fma_f16 v59, v1, v57, v59
	v_pk_fma_f16 v53, v1, v58, v53
	;; [unrolled: 1-line block ×8, first 2 shown]
	s_waitcnt lgkmcnt(0)
	v_pk_fma_f16 v45, v41, v57, v45
	v_pk_fma_f16 v46, v41, v58, v46
	;; [unrolled: 1-line block ×8, first 2 shown]
	ds_read2_b64 v[1:4], v39 offset1:32
	ds_read2_b64 v[41:44], v39 offset0:64 offset1:96
	v_mul_u32_u24_sdwa v57, v67, s15 dst_sel:DWORD dst_unused:UNUSED_PAD src0_sel:WORD_0 src1_sel:DWORD
	v_mul_u32_u24_sdwa v58, v67, s15 dst_sel:DWORD dst_unused:UNUSED_PAD src0_sel:WORD_1 src1_sel:DWORD
	s_waitcnt lgkmcnt(1)
	v_pk_fma_f16 v59, v1, v57, v59
	v_pk_fma_f16 v63, v1, v58, v53
	;; [unrolled: 1-line block ×8, first 2 shown]
	ds_read2_b64 v[1:4], v39 offset0:128 offset1:160
	ds_read2_b64 v[53:56], v39 offset0:192 offset1:224
	s_waitcnt lgkmcnt(2)
	v_pk_fma_f16 v67, v41, v57, v45
	v_pk_fma_f16 v69, v41, v58, v46
	;; [unrolled: 1-line block ×8, first 2 shown]
	s_waitcnt lgkmcnt(1)
	v_pk_fma_f16 v41, v1, v74, v59
	v_pk_fma_f16 v42, v1, v68, v63
	;; [unrolled: 1-line block ×4, first 2 shown]
	v_add_co_u32_e32 v1, vcc, s18, v31
	v_mov_b32_e32 v2, s19
	v_addc_co_u32_e32 v2, vcc, v32, v2, vcc
	v_pk_fma_f16 v45, v3, v74, v61
	v_pk_fma_f16 v46, v3, v68, v65
	;; [unrolled: 1-line block ×4, first 2 shown]
	s_waitcnt lgkmcnt(0)
	v_pk_fma_f16 v49, v53, v74, v67
	v_pk_fma_f16 v50, v53, v68, v69
	v_pk_fma_f16 v51, v54, v74, v70
	v_pk_fma_f16 v52, v54, v68, v71
	v_pk_fma_f16 v53, v55, v74, v72
	v_pk_fma_f16 v54, v55, v68, v73
	v_pk_fma_f16 v55, v56, v74, v57
	v_pk_fma_f16 v56, v56, v68, v58
	s_barrier
	global_load_dwordx4 v[57:60], v[1:2], off
	s_waitcnt vmcnt(0)
	ds_write_b128 v28, v[57:60]
	global_load_dwordx4 v[1:4], v[1:2], off offset:512
	s_waitcnt vmcnt(0)
	ds_write_b128 v29, v[1:4]
	s_waitcnt lgkmcnt(0)
	s_barrier
	ds_read2_b64 v[57:60], v30 offset1:32
	ds_read2_b64 v[61:64], v30 offset0:64 offset1:96
	ds_read_b128 v[65:68], v27 offset:224
	ds_read_b128 v[1:4], v27 offset:240
	s_waitcnt lgkmcnt(1)
	v_mul_u32_u24_sdwa v69, v65, s15 dst_sel:DWORD dst_unused:UNUSED_PAD src0_sel:WORD_0 src1_sel:DWORD
	v_mul_u32_u24_sdwa v65, v65, s15 dst_sel:DWORD dst_unused:UNUSED_PAD src0_sel:WORD_1 src1_sel:DWORD
	v_pk_fma_f16 v70, v57, v69, v41
	v_pk_fma_f16 v57, v57, v65, v42
	;; [unrolled: 1-line block ×8, first 2 shown]
	ds_read2_b64 v[41:44], v30 offset0:128 offset1:160
	ds_read2_b64 v[45:48], v30 offset0:192 offset1:224
	v_pk_fma_f16 v49, v61, v69, v49
	v_pk_fma_f16 v50, v61, v65, v50
	;; [unrolled: 1-line block ×8, first 2 shown]
	v_mul_u32_u24_sdwa v61, v66, s15 dst_sel:DWORD dst_unused:UNUSED_PAD src0_sel:WORD_0 src1_sel:DWORD
	v_mul_u32_u24_sdwa v62, v66, s15 dst_sel:DWORD dst_unused:UNUSED_PAD src0_sel:WORD_1 src1_sel:DWORD
	s_waitcnt lgkmcnt(1)
	v_pk_fma_f16 v63, v41, v61, v70
	v_pk_fma_f16 v57, v41, v62, v57
	;; [unrolled: 1-line block ×8, first 2 shown]
	s_waitcnt lgkmcnt(0)
	v_pk_fma_f16 v49, v45, v61, v49
	v_pk_fma_f16 v50, v45, v62, v50
	;; [unrolled: 1-line block ×8, first 2 shown]
	ds_read2_b64 v[41:44], v37 offset1:32
	ds_read2_b64 v[45:48], v37 offset0:64 offset1:96
	v_mul_u32_u24_sdwa v61, v67, s15 dst_sel:DWORD dst_unused:UNUSED_PAD src0_sel:WORD_0 src1_sel:DWORD
	v_mul_u32_u24_sdwa v62, v67, s15 dst_sel:DWORD dst_unused:UNUSED_PAD src0_sel:WORD_1 src1_sel:DWORD
	s_waitcnt lgkmcnt(1)
	v_pk_fma_f16 v63, v41, v61, v63
	v_pk_fma_f16 v57, v41, v62, v57
	;; [unrolled: 1-line block ×8, first 2 shown]
	s_waitcnt lgkmcnt(0)
	v_pk_fma_f16 v49, v45, v61, v49
	v_pk_fma_f16 v50, v45, v62, v50
	;; [unrolled: 1-line block ×8, first 2 shown]
	ds_read2_b64 v[41:44], v37 offset0:128 offset1:160
	ds_read2_b64 v[45:48], v37 offset0:192 offset1:224
	v_mul_u32_u24_sdwa v61, v68, s15 dst_sel:DWORD dst_unused:UNUSED_PAD src0_sel:WORD_0 src1_sel:DWORD
	v_mul_u32_u24_sdwa v62, v68, s15 dst_sel:DWORD dst_unused:UNUSED_PAD src0_sel:WORD_1 src1_sel:DWORD
	s_waitcnt lgkmcnt(1)
	v_pk_fma_f16 v63, v41, v61, v63
	v_pk_fma_f16 v57, v41, v62, v57
	;; [unrolled: 1-line block ×8, first 2 shown]
	s_waitcnt lgkmcnt(0)
	v_pk_fma_f16 v49, v45, v61, v49
	v_pk_fma_f16 v50, v45, v62, v50
	v_pk_fma_f16 v51, v46, v61, v51
	v_pk_fma_f16 v52, v46, v62, v52
	v_pk_fma_f16 v53, v47, v61, v53
	v_pk_fma_f16 v54, v47, v62, v54
	v_pk_fma_f16 v55, v48, v61, v55
	v_pk_fma_f16 v56, v48, v62, v56
	ds_read2_b64 v[41:44], v38 offset1:32
	ds_read2_b64 v[45:48], v38 offset0:64 offset1:96
	v_mul_u32_u24_sdwa v61, v1, s15 dst_sel:DWORD dst_unused:UNUSED_PAD src0_sel:WORD_0 src1_sel:DWORD
	v_mul_u32_u24_sdwa v1, v1, s15 dst_sel:DWORD dst_unused:UNUSED_PAD src0_sel:WORD_1 src1_sel:DWORD
	s_waitcnt lgkmcnt(1)
	v_pk_fma_f16 v62, v41, v61, v63
	v_pk_fma_f16 v57, v41, v1, v57
	;; [unrolled: 1-line block ×8, first 2 shown]
	s_waitcnt lgkmcnt(0)
	v_pk_fma_f16 v49, v45, v61, v49
	v_pk_fma_f16 v50, v45, v1, v50
	;; [unrolled: 1-line block ×8, first 2 shown]
	ds_read2_b64 v[41:44], v38 offset0:128 offset1:160
	ds_read2_b64 v[45:48], v38 offset0:192 offset1:224
	v_mul_u32_u24_sdwa v56, v2, s15 dst_sel:DWORD dst_unused:UNUSED_PAD src0_sel:WORD_0 src1_sel:DWORD
	v_mul_u32_u24_sdwa v2, v2, s15 dst_sel:DWORD dst_unused:UNUSED_PAD src0_sel:WORD_1 src1_sel:DWORD
	s_waitcnt lgkmcnt(1)
	v_pk_fma_f16 v61, v41, v56, v62
	v_pk_fma_f16 v57, v41, v2, v57
	;; [unrolled: 1-line block ×8, first 2 shown]
	s_waitcnt lgkmcnt(0)
	v_pk_fma_f16 v49, v45, v56, v49
	v_pk_fma_f16 v50, v45, v2, v50
	;; [unrolled: 1-line block ×8, first 2 shown]
	ds_read2_b64 v[41:44], v39 offset1:32
	ds_read2_b64 v[45:48], v39 offset0:64 offset1:96
	v_mul_u32_u24_sdwa v2, v3, s15 dst_sel:DWORD dst_unused:UNUSED_PAD src0_sel:WORD_0 src1_sel:DWORD
	v_mul_u32_u24_sdwa v3, v3, s15 dst_sel:DWORD dst_unused:UNUSED_PAD src0_sel:WORD_1 src1_sel:DWORD
	s_waitcnt lgkmcnt(1)
	v_pk_fma_f16 v56, v41, v2, v61
	v_pk_fma_f16 v41, v41, v3, v57
	;; [unrolled: 1-line block ×8, first 2 shown]
	s_waitcnt lgkmcnt(0)
	v_pk_fma_f16 v67, v45, v2, v49
	v_pk_fma_f16 v50, v45, v3, v50
	ds_read2_b64 v[42:45], v39 offset0:128 offset1:160
	ds_read2_b64 v[57:60], v39 offset0:192 offset1:224
	s_waitcnt lgkmcnt(0)
	s_barrier
	s_load_dword s18, s[0:1], 0x4
	v_pk_fma_f16 v51, v46, v2, v51
	v_pk_fma_f16 v68, v46, v3, v52
	;; [unrolled: 1-line block ×4, first 2 shown]
	s_waitcnt lgkmcnt(0)
	s_lshl_b32 s18, s18, 6
	v_pk_fma_f16 v2, v48, v2, v55
	v_pk_fma_f16 v1, v48, v3, v1
	v_mul_u32_u24_sdwa v3, v4, s15 dst_sel:DWORD dst_unused:UNUSED_PAD src0_sel:WORD_0 src1_sel:DWORD
	v_mul_u32_u24_sdwa v4, v4, s15 dst_sel:DWORD dst_unused:UNUSED_PAD src0_sel:WORD_1 src1_sel:DWORD
	s_add_i32 s6, s18, s6
	v_pk_fma_f16 v49, v42, v3, v56
	v_pk_fma_f16 v42, v42, v4, v41
	;; [unrolled: 1-line block ×16, first 2 shown]
	s_cmp_ge_i32 s6, s24
	s_cbranch_scc0 .LBB13_13
.LBB13_14:
	v_cmp_lt_i32_e32 vcc, v22, v17
	v_cndmask_b32_e32 v1, v16, v22, vcc
	v_lshlrev_b32_e32 v1, 2, v1
	ds_bpermute_b32 v2, v1, v40
	ds_bpermute_b32 v1, v1, v23
	v_cmp_lt_i32_e32 vcc, v21, v17
	v_cndmask_b32_e32 v3, v16, v21, vcc
	v_lshlrev_b32_e32 v3, 2, v3
	s_waitcnt lgkmcnt(1)
	v_add_f32_e32 v2, v40, v2
	s_waitcnt lgkmcnt(0)
	v_add_f32_e32 v1, v23, v1
	ds_bpermute_b32 v4, v3, v2
	ds_bpermute_b32 v3, v3, v1
	v_cmp_lt_i32_e32 vcc, v20, v17
	v_cndmask_b32_e32 v5, v16, v20, vcc
	v_lshlrev_b32_e32 v5, 2, v5
	s_waitcnt lgkmcnt(1)
	v_add_f32_e32 v2, v2, v4
	s_waitcnt lgkmcnt(0)
	v_add_f32_e32 v1, v1, v3
	;; [unrolled: 9-line block ×4, first 2 shown]
	ds_bpermute_b32 v4, v5, v2
	ds_bpermute_b32 v5, v5, v3
	s_cmp_lg_u64 s[16:17], 0
	s_cselect_b64 s[0:1], -1, 0
	s_cmp_eq_u32 s7, 0
	s_cselect_b64 s[8:9], -1, 0
	s_and_b64 s[0:1], s[8:9], s[0:1]
	s_waitcnt lgkmcnt(1)
	v_add_f32_e32 v1, v2, v4
	s_waitcnt lgkmcnt(0)
	v_add_f32_e32 v2, v3, v5
	s_and_b64 vcc, exec, s[0:1]
	s_cbranch_vccz .LBB13_17
; %bb.15:
	v_add_u32_e32 v3, s25, v13
	v_ashrrev_i32_e32 v4, 31, v3
	v_lshlrev_b64 v[3:4], 2, v[3:4]
	v_mov_b32_e32 v5, s17
	v_add_co_u32_e32 v3, vcc, s16, v3
	v_addc_co_u32_e32 v4, vcc, v5, v4, vcc
	global_load_dwordx2 v[3:4], v[3:4], off
	v_max_f32_e32 v5, v10, v10
	v_max_f32_e32 v6, v11, v11
	s_mov_b32 s0, 0x3fb8aa3b
	s_mov_b32 s1, 0xc2ce8ed0
	;; [unrolled: 1-line block ×3, first 2 shown]
	v_mov_b32_e32 v7, 0x7f800000
	s_waitcnt vmcnt(0)
	v_max_f32_e32 v8, v3, v3
	v_max_f32_e32 v9, v4, v4
	v_max_f32_e32 v5, v5, v8
	v_max_f32_e32 v6, v6, v9
	v_sub_f32_e32 v8, v10, v5
	v_sub_f32_e32 v9, v11, v6
	v_mov_b32_e32 v11, v6
	v_sub_f32_e32 v3, v3, v5
	v_mov_b32_e32 v10, v5
	v_mul_f32_e32 v5, 0x3fb8aa3b, v8
	v_sub_f32_e32 v4, v4, v6
	v_mul_f32_e32 v6, 0x3fb8aa3b, v3
	v_fma_f32 v17, v8, s0, -v5
	v_rndne_f32_e32 v18, v5
	v_mul_f32_e32 v15, 0x3fb8aa3b, v9
	v_fma_f32 v19, v3, s0, -v6
	v_rndne_f32_e32 v20, v6
	v_fmac_f32_e32 v17, 0x32a5705f, v8
	v_sub_f32_e32 v5, v5, v18
	v_mul_f32_e32 v16, 0x3fb8aa3b, v4
	v_fma_f32 v21, v9, s0, -v15
	v_rndne_f32_e32 v22, v15
	v_fmac_f32_e32 v19, 0x32a5705f, v3
	v_sub_f32_e32 v6, v6, v20
	v_add_f32_e32 v5, v5, v17
	v_fma_f32 v23, v4, s0, -v16
	v_rndne_f32_e32 v24, v16
	v_cvt_i32_f32_e32 v18, v18
	v_fmac_f32_e32 v21, 0x32a5705f, v9
	v_sub_f32_e32 v15, v15, v22
	v_add_f32_e32 v6, v6, v19
	v_exp_f32_e32 v5, v5
	v_cvt_i32_f32_e32 v20, v20
	v_fmac_f32_e32 v23, 0x32a5705f, v4
	v_sub_f32_e32 v16, v16, v24
	v_add_f32_e32 v15, v15, v21
	v_exp_f32_e32 v6, v6
	v_cvt_i32_f32_e32 v22, v22
	v_add_f32_e32 v16, v16, v23
	v_exp_f32_e32 v15, v15
	v_cvt_i32_f32_e32 v24, v24
	v_exp_f32_e32 v16, v16
	v_ldexp_f32 v5, v5, v18
	v_cmp_ngt_f32_e32 vcc, s1, v8
	v_ldexp_f32 v6, v6, v20
	v_cndmask_b32_e32 v5, 0, v5, vcc
	v_cmp_ngt_f32_e32 vcc, s1, v3
	v_ldexp_f32 v15, v15, v22
	v_cndmask_b32_e32 v6, 0, v6, vcc
	;; [unrolled: 3-line block ×3, first 2 shown]
	v_cmp_ngt_f32_e32 vcc, s1, v4
	v_cndmask_b32_e32 v16, 0, v16, vcc
	v_cmp_nlt_f32_e32 vcc, s6, v8
	v_cndmask_b32_e32 v5, v7, v5, vcc
	v_cmp_nlt_f32_e32 vcc, s6, v3
	;; [unrolled: 2-line block ×4, first 2 shown]
	v_cndmask_b32_e32 v4, v7, v16, vcc
	v_fmac_f32_e32 v3, v1, v5
	v_cvt_f16_f32_e32 v5, v5
	v_cvt_f16_f32_e32 v7, v6
	v_fmac_f32_e32 v4, v2, v6
	v_mov_b32_e32 v1, v3
	v_mul_u32_u24_e32 v2, 0x10001, v5
	v_mul_u32_u24_e32 v5, 0x10001, v7
	v_pk_mul_f16 v49, v49, v2
	v_pk_mul_f16 v56, v56, v2
	v_pk_mul_f16 v54, v54, v2
	v_pk_mul_f16 v55, v55, v2
	v_pk_mul_f16 v52, v52, v2
	v_pk_mul_f16 v53, v53, v2
	v_pk_mul_f16 v50, v50, v2
	v_pk_mul_f16 v51, v51, v2
	v_pk_mul_f16 v42, v42, v5
	v_pk_mul_f16 v48, v48, v5
	v_pk_mul_f16 v46, v46, v5
	v_pk_mul_f16 v47, v47, v5
	v_pk_mul_f16 v44, v44, v5
	v_pk_mul_f16 v45, v45, v5
	v_pk_mul_f16 v43, v43, v5
	v_pk_mul_f16 v41, v41, v5
	v_mov_b32_e32 v2, v4
	v_cmp_gt_i32_e32 vcc, s2, v12
	s_and_saveexec_b64 s[0:1], vcc
	s_cbranch_execnz .LBB13_18
.LBB13_16:
	s_endpgm
.LBB13_17:
	v_mov_b32_e32 v4, v2
	v_mov_b32_e32 v3, v1
	v_cmp_gt_i32_e32 vcc, s2, v12
	s_and_saveexec_b64 s[0:1], vcc
	s_cbranch_execz .LBB13_16
.LBB13_18:
	s_load_dword s6, s[4:5], 0xd4
	v_mov_b32_e32 v5, 1.0
	s_waitcnt lgkmcnt(0)
	s_cmp_lg_u32 s6, 1
	s_cselect_b64 s[0:1], -1, 0
	s_cmp_eq_u32 s6, 1
	s_cselect_b64 s[4:5], -1, 0
	s_and_b64 vcc, exec, s[0:1]
	s_cbranch_vccnz .LBB13_20
; %bb.19:
	v_div_scale_f32 v5, s[8:9], v1, v1, 1.0
	v_div_scale_f32 v6, vcc, 1.0, v1, 1.0
	v_rcp_f32_e32 v7, v5
	v_fma_f32 v8, -v5, v7, 1.0
	v_fmac_f32_e32 v7, v8, v7
	v_mul_f32_e32 v8, v6, v7
	v_fma_f32 v9, -v5, v8, v6
	v_fmac_f32_e32 v8, v9, v7
	v_fma_f32 v5, -v5, v8, v6
	v_div_fmas_f32 v5, v5, v7, v8
	v_div_fixup_f32 v5, v5, v1, 1.0
.LBB13_20:
	s_mul_i32 s30, s30, s2
	v_add_u32_e32 v1, s30, v12
	v_mul_lo_u32 v1, v1, s3
	v_cmp_eq_u32_e32 vcc, 0, v0
	v_cvt_f32_f16_sdwa v6, v56 dst_sel:DWORD dst_unused:UNUSED_PAD src0_sel:WORD_1
	v_cvt_f32_f16_e32 v7, v56
	v_add3_u32 v0, s25, v13, v1
	v_mul_lo_u32 v0, s6, v0
	v_cvt_f32_f16_e32 v13, v49
	v_cvt_f32_f16_sdwa v1, v49 dst_sel:DWORD dst_unused:UNUSED_PAD src0_sel:WORD_1
	v_mul_f32_e32 v9, v5, v6
	v_add_u32_e32 v0, s7, v0
	v_lshl_add_u32 v12, v0, 9, v14
	v_mul_f32_e32 v6, v5, v13
	v_mov_b32_e32 v13, 0
	v_lshlrev_b64 v[15:16], 2, v[12:13]
	s_and_b64 s[0:1], vcc, s[0:1]
	v_mul_f32_e32 v8, v5, v7
	v_mul_f32_e32 v7, v5, v1
	v_mov_b32_e32 v1, s21
	v_add_co_u32_e32 v15, vcc, s20, v15
	v_addc_co_u32_e32 v16, vcc, v1, v16, vcc
	global_store_dwordx4 v[15:16], v[6:9], off
	v_cvt_f32_f16_e32 v15, v54
	v_cvt_f32_f16_e32 v6, v55
	v_cvt_f32_f16_sdwa v1, v55 dst_sel:DWORD dst_unused:UNUSED_PAD src0_sel:WORD_1
	v_cvt_f32_f16_sdwa v7, v54 dst_sel:DWORD dst_unused:UNUSED_PAD src0_sel:WORD_1
	v_mov_b32_e32 v16, v13
	v_mul_f32_e32 v8, v5, v6
	v_mul_f32_e32 v6, v5, v15
	v_add_u32_e32 v15, 0x80, v12
	v_lshlrev_b64 v[15:16], 2, v[15:16]
	v_mul_f32_e32 v9, v5, v1
	v_mov_b32_e32 v1, s21
	v_add_co_u32_e32 v15, vcc, s20, v15
	v_mul_f32_e32 v7, v5, v7
	v_addc_co_u32_e32 v16, vcc, v1, v16, vcc
	global_store_dwordx4 v[15:16], v[6:9], off
	v_cvt_f32_f16_e32 v15, v52
	v_cvt_f32_f16_e32 v6, v53
	v_cvt_f32_f16_sdwa v1, v53 dst_sel:DWORD dst_unused:UNUSED_PAD src0_sel:WORD_1
	v_cvt_f32_f16_sdwa v7, v52 dst_sel:DWORD dst_unused:UNUSED_PAD src0_sel:WORD_1
	v_mov_b32_e32 v16, v13
	v_mul_f32_e32 v8, v5, v6
	v_mul_f32_e32 v6, v5, v15
	v_add_u32_e32 v15, 0x100, v12
	v_lshlrev_b64 v[15:16], 2, v[15:16]
	v_mul_f32_e32 v9, v5, v1
	v_mov_b32_e32 v1, s21
	v_add_co_u32_e32 v15, vcc, s20, v15
	v_mul_f32_e32 v7, v5, v7
	v_addc_co_u32_e32 v16, vcc, v1, v16, vcc
	v_cvt_f32_f16_sdwa v1, v51 dst_sel:DWORD dst_unused:UNUSED_PAD src0_sel:WORD_1
	global_store_dwordx4 v[15:16], v[6:9], off
	v_cvt_f32_f16_e32 v15, v50
	v_cvt_f32_f16_e32 v6, v51
	v_cvt_f32_f16_sdwa v9, v50 dst_sel:DWORD dst_unused:UNUSED_PAD src0_sel:WORD_1
	v_add_u32_e32 v12, 0x180, v12
	v_lshlrev_b64 v[12:13], 2, v[12:13]
	v_mul_f32_e32 v8, v5, v1
	v_mov_b32_e32 v1, s21
	v_add_co_u32_e32 v12, vcc, s20, v12
	v_mul_f32_e32 v7, v5, v6
	v_mul_f32_e32 v6, v5, v9
	;; [unrolled: 1-line block ×3, first 2 shown]
	v_addc_co_u32_e32 v13, vcc, v1, v13, vcc
	global_store_dwordx4 v[12:13], v[5:8], off
	s_and_saveexec_b64 s[2:3], s[0:1]
	s_cbranch_execz .LBB13_22
; %bb.21:
	v_ashrrev_i32_e32 v1, 31, v0
	v_lshlrev_b64 v[5:6], 3, v[0:1]
	v_mov_b32_e32 v1, s23
	v_add_co_u32_e32 v5, vcc, s22, v5
	v_addc_co_u32_e32 v6, vcc, v1, v6, vcc
	v_mov_b32_e32 v7, v10
	v_mov_b32_e32 v8, v3
	global_store_dwordx2 v[5:6], v[7:8], off
.LBB13_22:
	s_or_b64 exec, exec, s[2:3]
	s_andn2_b64 vcc, exec, s[4:5]
	v_mov_b32_e32 v1, 1.0
	s_cbranch_vccnz .LBB13_24
; %bb.23:
	v_div_scale_f32 v1, s[2:3], v2, v2, 1.0
	v_div_scale_f32 v3, vcc, 1.0, v2, 1.0
	v_rcp_f32_e32 v5, v1
	v_fma_f32 v6, -v1, v5, 1.0
	v_fmac_f32_e32 v5, v6, v5
	v_mul_f32_e32 v6, v3, v5
	v_fma_f32 v7, -v1, v6, v3
	v_fmac_f32_e32 v6, v7, v5
	v_fma_f32 v1, -v1, v6, v3
	v_div_fmas_f32 v1, v1, v5, v6
	v_div_fixup_f32 v1, v1, v2, 1.0
.LBB13_24:
	v_cvt_f32_f16_sdwa v3, v48 dst_sel:DWORD dst_unused:UNUSED_PAD src0_sel:WORD_1
	v_cvt_f32_f16_e32 v5, v48
	v_cvt_f32_f16_e32 v9, v42
	v_add_u32_e32 v0, s6, v0
	v_lshl_add_u32 v2, v0, 9, v14
	v_cvt_f32_f16_sdwa v6, v42 dst_sel:DWORD dst_unused:UNUSED_PAD src0_sel:WORD_1
	v_mul_f32_e32 v8, v1, v3
	v_mov_b32_e32 v3, 0
	v_mul_f32_e32 v7, v1, v5
	v_mul_f32_e32 v5, v1, v9
	v_lshlrev_b64 v[9:10], 2, v[2:3]
	v_mov_b32_e32 v12, s21
	v_add_co_u32_e32 v9, vcc, s20, v9
	v_mul_f32_e32 v6, v1, v6
	v_addc_co_u32_e32 v10, vcc, v12, v10, vcc
	global_store_dwordx4 v[9:10], v[5:8], off
	v_cvt_f32_f16_sdwa v9, v46 dst_sel:DWORD dst_unused:UNUSED_PAD src0_sel:WORD_1
	v_cvt_f32_f16_sdwa v5, v47 dst_sel:DWORD dst_unused:UNUSED_PAD src0_sel:WORD_1
	v_cvt_f32_f16_e32 v6, v47
	v_cvt_f32_f16_e32 v10, v46
	v_mul_f32_e32 v8, v1, v5
	v_mul_f32_e32 v7, v1, v6
	;; [unrolled: 1-line block ×4, first 2 shown]
	v_add_u32_e32 v9, 0x80, v2
	v_mov_b32_e32 v10, v3
	v_lshlrev_b64 v[9:10], 2, v[9:10]
	v_add_co_u32_e32 v9, vcc, s20, v9
	v_addc_co_u32_e32 v10, vcc, v12, v10, vcc
	global_store_dwordx4 v[9:10], v[5:8], off
	v_cvt_f32_f16_sdwa v9, v44 dst_sel:DWORD dst_unused:UNUSED_PAD src0_sel:WORD_1
	v_cvt_f32_f16_sdwa v5, v45 dst_sel:DWORD dst_unused:UNUSED_PAD src0_sel:WORD_1
	v_cvt_f32_f16_e32 v6, v45
	v_cvt_f32_f16_e32 v10, v44
	v_mul_f32_e32 v8, v1, v5
	v_mul_f32_e32 v7, v1, v6
	;; [unrolled: 1-line block ×4, first 2 shown]
	v_add_u32_e32 v9, 0x100, v2
	v_mov_b32_e32 v10, v3
	v_lshlrev_b64 v[9:10], 2, v[9:10]
	v_add_u32_e32 v2, 0x180, v2
	v_add_co_u32_e32 v9, vcc, s20, v9
	v_addc_co_u32_e32 v10, vcc, v12, v10, vcc
	global_store_dwordx4 v[9:10], v[5:8], off
	v_cvt_f32_f16_sdwa v9, v43 dst_sel:DWORD dst_unused:UNUSED_PAD src0_sel:WORD_1
	v_cvt_f32_f16_sdwa v5, v41 dst_sel:DWORD dst_unused:UNUSED_PAD src0_sel:WORD_1
	v_cvt_f32_f16_e32 v6, v41
	v_cvt_f32_f16_e32 v10, v43
	v_mul_f32_e32 v8, v1, v5
	v_mul_f32_e32 v7, v1, v6
	v_mul_f32_e32 v6, v1, v9
	v_mul_f32_e32 v5, v1, v10
	v_lshlrev_b64 v[1:2], 2, v[2:3]
	v_mov_b32_e32 v3, s21
	v_add_co_u32_e32 v1, vcc, s20, v1
	v_addc_co_u32_e32 v2, vcc, v3, v2, vcc
	global_store_dwordx4 v[1:2], v[5:8], off
	s_and_b64 exec, exec, s[0:1]
	s_cbranch_execz .LBB13_16
; %bb.25:
	v_ashrrev_i32_e32 v1, 31, v0
	v_lshlrev_b64 v[0:1], 3, v[0:1]
	v_mov_b32_e32 v2, s23
	v_add_co_u32_e32 v0, vcc, s22, v0
	v_addc_co_u32_e32 v1, vcc, v2, v1, vcc
	v_mov_b32_e32 v3, v11
	global_store_dwordx2 v[0:1], v[3:4], off
	s_endpgm
	.section	.rodata,"a",@progbits
	.p2align	6, 0x0
	.amdhsa_kernel _ZL15flash_attn_tileILi576ELi512ELi4ELi4ELb0EEvPKcS1_S1_S1_S1_PKiPfP15HIP_vector_typeIfLj2EEffffjfiS5_IjLj3EEiiiiiiiiiiiliiliiiiil
		.amdhsa_group_segment_fixed_size 29696
		.amdhsa_private_segment_fixed_size 0
		.amdhsa_kernarg_size 464
		.amdhsa_user_sgpr_count 6
		.amdhsa_user_sgpr_private_segment_buffer 1
		.amdhsa_user_sgpr_dispatch_ptr 0
		.amdhsa_user_sgpr_queue_ptr 0
		.amdhsa_user_sgpr_kernarg_segment_ptr 1
		.amdhsa_user_sgpr_dispatch_id 0
		.amdhsa_user_sgpr_flat_scratch_init 0
		.amdhsa_user_sgpr_private_segment_size 0
		.amdhsa_uses_dynamic_stack 0
		.amdhsa_system_sgpr_private_segment_wavefront_offset 0
		.amdhsa_system_sgpr_workgroup_id_x 1
		.amdhsa_system_sgpr_workgroup_id_y 1
		.amdhsa_system_sgpr_workgroup_id_z 1
		.amdhsa_system_sgpr_workgroup_info 0
		.amdhsa_system_vgpr_workitem_id 1
		.amdhsa_next_free_vgpr 85
		.amdhsa_next_free_sgpr 98
		.amdhsa_reserve_vcc 1
		.amdhsa_reserve_flat_scratch 0
		.amdhsa_float_round_mode_32 0
		.amdhsa_float_round_mode_16_64 0
		.amdhsa_float_denorm_mode_32 3
		.amdhsa_float_denorm_mode_16_64 3
		.amdhsa_dx10_clamp 1
		.amdhsa_ieee_mode 1
		.amdhsa_fp16_overflow 0
		.amdhsa_exception_fp_ieee_invalid_op 0
		.amdhsa_exception_fp_denorm_src 0
		.amdhsa_exception_fp_ieee_div_zero 0
		.amdhsa_exception_fp_ieee_overflow 0
		.amdhsa_exception_fp_ieee_underflow 0
		.amdhsa_exception_fp_ieee_inexact 0
		.amdhsa_exception_int_div_zero 0
	.end_amdhsa_kernel
	.section	.text._ZL15flash_attn_tileILi576ELi512ELi4ELi4ELb0EEvPKcS1_S1_S1_S1_PKiPfP15HIP_vector_typeIfLj2EEffffjfiS5_IjLj3EEiiiiiiiiiiiliiliiiiil,"axG",@progbits,_ZL15flash_attn_tileILi576ELi512ELi4ELi4ELb0EEvPKcS1_S1_S1_S1_PKiPfP15HIP_vector_typeIfLj2EEffffjfiS5_IjLj3EEiiiiiiiiiiiliiliiiiil,comdat
.Lfunc_end13:
	.size	_ZL15flash_attn_tileILi576ELi512ELi4ELi4ELb0EEvPKcS1_S1_S1_S1_PKiPfP15HIP_vector_typeIfLj2EEffffjfiS5_IjLj3EEiiiiiiiiiiiliiliiiiil, .Lfunc_end13-_ZL15flash_attn_tileILi576ELi512ELi4ELi4ELb0EEvPKcS1_S1_S1_S1_PKiPfP15HIP_vector_typeIfLj2EEffffjfiS5_IjLj3EEiiiiiiiiiiiliiliiiiil
                                        ; -- End function
	.set _ZL15flash_attn_tileILi576ELi512ELi4ELi4ELb0EEvPKcS1_S1_S1_S1_PKiPfP15HIP_vector_typeIfLj2EEffffjfiS5_IjLj3EEiiiiiiiiiiiliiliiiiil.num_vgpr, 77
	.set _ZL15flash_attn_tileILi576ELi512ELi4ELi4ELb0EEvPKcS1_S1_S1_S1_PKiPfP15HIP_vector_typeIfLj2EEffffjfiS5_IjLj3EEiiiiiiiiiiiliiliiiiil.num_agpr, 0
	.set _ZL15flash_attn_tileILi576ELi512ELi4ELi4ELb0EEvPKcS1_S1_S1_S1_PKiPfP15HIP_vector_typeIfLj2EEffffjfiS5_IjLj3EEiiiiiiiiiiiliiliiiiil.numbered_sgpr, 40
	.set _ZL15flash_attn_tileILi576ELi512ELi4ELi4ELb0EEvPKcS1_S1_S1_S1_PKiPfP15HIP_vector_typeIfLj2EEffffjfiS5_IjLj3EEiiiiiiiiiiiliiliiiiil.num_named_barrier, 0
	.set _ZL15flash_attn_tileILi576ELi512ELi4ELi4ELb0EEvPKcS1_S1_S1_S1_PKiPfP15HIP_vector_typeIfLj2EEffffjfiS5_IjLj3EEiiiiiiiiiiiliiliiiiil.private_seg_size, 0
	.set _ZL15flash_attn_tileILi576ELi512ELi4ELi4ELb0EEvPKcS1_S1_S1_S1_PKiPfP15HIP_vector_typeIfLj2EEffffjfiS5_IjLj3EEiiiiiiiiiiiliiliiiiil.uses_vcc, 1
	.set _ZL15flash_attn_tileILi576ELi512ELi4ELi4ELb0EEvPKcS1_S1_S1_S1_PKiPfP15HIP_vector_typeIfLj2EEffffjfiS5_IjLj3EEiiiiiiiiiiiliiliiiiil.uses_flat_scratch, 0
	.set _ZL15flash_attn_tileILi576ELi512ELi4ELi4ELb0EEvPKcS1_S1_S1_S1_PKiPfP15HIP_vector_typeIfLj2EEffffjfiS5_IjLj3EEiiiiiiiiiiiliiliiiiil.has_dyn_sized_stack, 0
	.set _ZL15flash_attn_tileILi576ELi512ELi4ELi4ELb0EEvPKcS1_S1_S1_S1_PKiPfP15HIP_vector_typeIfLj2EEffffjfiS5_IjLj3EEiiiiiiiiiiiliiliiiiil.has_recursion, 0
	.set _ZL15flash_attn_tileILi576ELi512ELi4ELi4ELb0EEvPKcS1_S1_S1_S1_PKiPfP15HIP_vector_typeIfLj2EEffffjfiS5_IjLj3EEiiiiiiiiiiiliiliiiiil.has_indirect_call, 0
	.section	.AMDGPU.csdata,"",@progbits
; Kernel info:
; codeLenInByte = 29568
; TotalNumSgprs: 44
; NumVgprs: 77
; ScratchSize: 0
; MemoryBound: 0
; FloatMode: 240
; IeeeMode: 1
; LDSByteSize: 29696 bytes/workgroup (compile time only)
; SGPRBlocks: 12
; VGPRBlocks: 21
; NumSGPRsForWavesPerEU: 102
; NumVGPRsForWavesPerEU: 85
; Occupancy: 2
; WaveLimiterHint : 1
; COMPUTE_PGM_RSRC2:SCRATCH_EN: 0
; COMPUTE_PGM_RSRC2:USER_SGPR: 6
; COMPUTE_PGM_RSRC2:TRAP_HANDLER: 0
; COMPUTE_PGM_RSRC2:TGID_X_EN: 1
; COMPUTE_PGM_RSRC2:TGID_Y_EN: 1
; COMPUTE_PGM_RSRC2:TGID_Z_EN: 1
; COMPUTE_PGM_RSRC2:TIDIG_COMP_CNT: 1
	.section	.text._ZL25flash_attn_mask_to_KV_maxILi4EEvPK7__half2Piiii,"axG",@progbits,_ZL25flash_attn_mask_to_KV_maxILi4EEvPK7__half2Piiii,comdat
	.globl	_ZL25flash_attn_mask_to_KV_maxILi4EEvPK7__half2Piiii ; -- Begin function _ZL25flash_attn_mask_to_KV_maxILi4EEvPK7__half2Piiii
	.p2align	8
	.type	_ZL25flash_attn_mask_to_KV_maxILi4EEvPK7__half2Piiii,@function
_ZL25flash_attn_mask_to_KV_maxILi4EEvPK7__half2Piiii: ; @_ZL25flash_attn_mask_to_KV_maxILi4EEvPK7__half2Piiii
; %bb.0:
	s_load_dwordx4 s[8:11], s[4:5], 0x0
	v_cmp_gt_u32_e32 vcc, 32, v0
	s_and_saveexec_b64 s[0:1], vcc
; %bb.1:
	v_lshlrev_b32_e32 v1, 2, v0
	v_mov_b32_e32 v2, 1
	ds_write_b32 v1, v2
; %bb.2:
	s_or_b64 exec, exec, s[0:1]
	s_load_dwordx4 s[12:15], s[4:5], 0x10
	s_load_dword s22, s[4:5], 0x20
	v_and_b32_e32 v1, 31, v0
	v_lshlrev_b32_e32 v6, 2, v1
	v_lshrrev_b32_e32 v5, 3, v0
	s_waitcnt lgkmcnt(0)
	s_mul_i32 s1, s6, s13
	s_mul_i32 s0, s14, s7
	s_lshl_b32 s1, s1, 2
	s_add_i32 s0, s0, s1
	s_ashr_i32 s1, s0, 31
	s_lshl_b64 s[0:1], s[0:1], 2
	s_add_u32 s23, s8, s0
	s_addc_u32 s24, s9, s1
	v_cmp_eq_u32_e64 s[0:1], 0, v1
	v_mbcnt_lo_u32_b32 v1, -1, 0
	s_lshl_b32 s12, s12, 8
	s_mov_b64 s[4:5], 0
	v_mov_b32_e32 v2, 0
	s_movk_i32 s25, 0x204
	v_mbcnt_hi_u32_b32 v7, -1, v1
	s_barrier
                                        ; implicit-def: $sgpr2_sgpr3
	s_branch .LBB14_5
.LBB14_3:                               ;   in Loop: Header=BB14_5 Depth=1
	s_or_b64 exec, exec, s[8:9]
	s_waitcnt lgkmcnt(0)
	s_barrier
	ds_read_b32 v10, v6
	s_waitcnt lgkmcnt(0)
	s_barrier
	ds_bpermute_b32 v1, v1, v10
	v_cmp_ne_u32_e32 vcc, 0, v10
	s_waitcnt lgkmcnt(0)
	v_cmp_ne_u32_e64 s[2:3], 0, v1
	s_and_b64 s[2:3], vcc, s[2:3]
	v_cndmask_b32_e64 v1, 0, 1, s[2:3]
	ds_bpermute_b32 v1, v3, v1
	s_waitcnt lgkmcnt(0)
	v_cmp_ne_u32_e32 vcc, 0, v1
	s_and_b64 s[2:3], vcc, s[2:3]
	v_cndmask_b32_e64 v1, 0, 1, s[2:3]
	ds_bpermute_b32 v1, v4, v1
	s_waitcnt lgkmcnt(0)
	v_cmp_ne_u32_e32 vcc, 0, v1
	;; [unrolled: 5-line block ×3, first 2 shown]
	s_and_b64 s[2:3], vcc, s[2:3]
	v_cndmask_b32_e64 v1, 0, 1, s[2:3]
	ds_bpermute_b32 v1, v9, v1
	s_xor_b64 s[2:3], s[2:3], -1
	s_waitcnt lgkmcnt(0)
	v_cmp_eq_u32_e32 vcc, 0, v1
	s_or_b64 s[2:3], vcc, s[2:3]
.LBB14_4:                               ;   in Loop: Header=BB14_5 Depth=1
	s_and_b64 s[8:9], exec, s[2:3]
	s_or_b64 s[4:5], s[8:9], s[4:5]
	v_mov_b32_e32 v1, s12
	s_mov_b32 s12, s26
	s_andn2_b64 exec, exec, s[4:5]
	s_cbranch_execz .LBB14_20
.LBB14_5:                               ; =>This Inner Loop Header: Depth=1
	s_add_i32 s26, s12, 0xffffff00
	s_or_b64 s[2:3], s[2:3], exec
	s_cmp_lt_i32 s26, 0
	s_cbranch_scc1 .LBB14_4
; %bb.6:                                ;   in Loop: Header=BB14_5 Depth=1
	s_lshr_b32 s2, s26, 1
	v_add_u32_e32 v1, s2, v0
	v_lshlrev_b64 v[3:4], 2, v[1:2]
	v_mov_b32_e32 v8, s24
	v_add_co_u32_e32 v3, vcc, s23, v3
	v_addc_co_u32_e32 v4, vcc, v8, v4, vcc
	global_load_dword v3, v[3:4], off
	v_mov_b32_e32 v4, 0
	s_waitcnt vmcnt(0)
	v_cmp_class_f16_e64 s[2:3], v3, s25
	v_cmp_class_f16_sdwa s[8:9], v3, s25 src0_sel:WORD_1 src1_sel:DWORD
	s_and_b64 s[8:9], s[2:3], s[8:9]
	s_and_saveexec_b64 s[2:3], s[8:9]
	s_cbranch_execz .LBB14_18
; %bb.7:                                ;   in Loop: Header=BB14_5 Depth=1
	v_add_u32_e32 v3, s13, v1
	v_ashrrev_i32_e32 v4, 31, v3
	v_lshlrev_b64 v[8:9], 2, v[3:4]
	v_mov_b32_e32 v1, s24
	v_add_co_u32_e32 v8, vcc, s23, v8
	v_addc_co_u32_e32 v9, vcc, v1, v9, vcc
	global_load_dword v1, v[8:9], off
	v_mov_b32_e32 v4, 0
	s_waitcnt vmcnt(0)
	v_cmp_class_f16_e64 s[14:15], v1, s25
	s_and_saveexec_b64 s[8:9], s[14:15]
	s_cbranch_execz .LBB14_17
; %bb.8:                                ;   in Loop: Header=BB14_5 Depth=1
	v_cmp_class_f16_sdwa s[16:17], v1, s25 src0_sel:WORD_1 src1_sel:DWORD
	v_mov_b32_e32 v4, 0
	s_and_saveexec_b64 s[14:15], s[16:17]
	s_cbranch_execz .LBB14_16
; %bb.9:                                ;   in Loop: Header=BB14_5 Depth=1
	v_add_u32_e32 v3, s13, v3
	v_ashrrev_i32_e32 v4, 31, v3
	v_lshlrev_b64 v[8:9], 2, v[3:4]
	v_mov_b32_e32 v1, s24
	v_add_co_u32_e32 v8, vcc, s23, v8
	v_addc_co_u32_e32 v9, vcc, v1, v9, vcc
	global_load_dword v1, v[8:9], off
	v_mov_b32_e32 v4, 0
	s_waitcnt vmcnt(0)
	v_cmp_class_f16_e64 s[18:19], v1, s25
	s_and_saveexec_b64 s[16:17], s[18:19]
	s_cbranch_execz .LBB14_15
; %bb.10:                               ;   in Loop: Header=BB14_5 Depth=1
	v_cmp_class_f16_sdwa s[20:21], v1, s25 src0_sel:WORD_1 src1_sel:DWORD
	v_mov_b32_e32 v4, 0
	s_and_saveexec_b64 s[18:19], s[20:21]
	s_cbranch_execz .LBB14_14
; %bb.11:                               ;   in Loop: Header=BB14_5 Depth=1
	v_add_u32_e32 v3, s13, v3
	v_ashrrev_i32_e32 v4, 31, v3
	v_lshlrev_b64 v[3:4], 2, v[3:4]
	v_mov_b32_e32 v1, s24
	v_add_co_u32_e32 v3, vcc, s23, v3
	v_addc_co_u32_e32 v4, vcc, v1, v4, vcc
	global_load_dword v1, v[3:4], off
	v_mov_b32_e32 v4, 0
	s_waitcnt vmcnt(0)
	v_cmp_class_f16_e64 s[28:29], v1, s25
	s_and_saveexec_b64 s[20:21], s[28:29]
; %bb.12:                               ;   in Loop: Header=BB14_5 Depth=1
	v_cmp_class_f16_sdwa s[28:29], v1, s25 src0_sel:WORD_1 src1_sel:DWORD
	v_cndmask_b32_e64 v4, 0, 1, s[28:29]
; %bb.13:                               ;   in Loop: Header=BB14_5 Depth=1
	s_or_b64 exec, exec, s[20:21]
.LBB14_14:                              ;   in Loop: Header=BB14_5 Depth=1
	s_or_b64 exec, exec, s[18:19]
.LBB14_15:                              ;   in Loop: Header=BB14_5 Depth=1
	s_or_b64 exec, exec, s[16:17]
.LBB14_16:                              ;   in Loop: Header=BB14_5 Depth=1
	s_or_b64 exec, exec, s[14:15]
.LBB14_17:                              ;   in Loop: Header=BB14_5 Depth=1
	s_or_b64 exec, exec, s[8:9]
.LBB14_18:                              ;   in Loop: Header=BB14_5 Depth=1
	s_or_b64 exec, exec, s[2:3]
	v_and_b32_e32 v1, 0x60, v7
	v_add_u32_e32 v9, 32, v1
	v_xor_b32_e32 v1, 16, v7
	v_cmp_lt_i32_e32 vcc, v1, v9
	v_cndmask_b32_e32 v1, v7, v1, vcc
	v_lshlrev_b32_e32 v1, 2, v1
	ds_bpermute_b32 v3, v1, v4
	v_cmp_ne_u32_e32 vcc, 0, v4
	v_xor_b32_e32 v11, 1, v7
	s_waitcnt lgkmcnt(0)
	v_cmp_ne_u32_e64 s[2:3], 0, v3
	v_xor_b32_e32 v3, 8, v7
	s_and_b64 s[2:3], vcc, s[2:3]
	v_cmp_lt_i32_e32 vcc, v3, v9
	v_cndmask_b32_e32 v3, v7, v3, vcc
	v_cndmask_b32_e64 v4, 0, 1, s[2:3]
	v_lshlrev_b32_e32 v3, 2, v3
	ds_bpermute_b32 v4, v3, v4
	s_waitcnt lgkmcnt(0)
	v_cmp_ne_u32_e32 vcc, 0, v4
	v_xor_b32_e32 v4, 4, v7
	s_and_b64 s[2:3], vcc, s[2:3]
	v_cmp_lt_i32_e32 vcc, v4, v9
	v_cndmask_b32_e32 v4, v7, v4, vcc
	v_cndmask_b32_e64 v8, 0, 1, s[2:3]
	v_lshlrev_b32_e32 v4, 2, v4
	ds_bpermute_b32 v8, v4, v8
	s_waitcnt lgkmcnt(0)
	v_cmp_ne_u32_e32 vcc, 0, v8
	;; [unrolled: 9-line block ×3, first 2 shown]
	s_and_b64 s[2:3], vcc, s[2:3]
	v_cmp_lt_i32_e32 vcc, v11, v9
	v_cndmask_b32_e32 v9, v7, v11, vcc
	v_cndmask_b32_e64 v10, 0, 1, s[2:3]
	v_lshlrev_b32_e32 v9, 2, v9
	ds_bpermute_b32 v10, v9, v10
	s_and_saveexec_b64 s[8:9], s[0:1]
	s_cbranch_execz .LBB14_3
; %bb.19:                               ;   in Loop: Header=BB14_5 Depth=1
	s_waitcnt lgkmcnt(0)
	v_cmp_ne_u32_e32 vcc, 0, v10
	s_and_b64 s[2:3], vcc, s[2:3]
	v_cndmask_b32_e64 v10, 0, 1, s[2:3]
	ds_write_b32 v5, v10
	s_branch .LBB14_3
.LBB14_20:
	s_or_b64 exec, exec, s[4:5]
	v_cmp_eq_u32_e32 vcc, 0, v0
	s_and_saveexec_b64 s[0:1], vcc
	s_cbranch_execz .LBB14_22
; %bb.21:
	s_mul_i32 s0, s22, s7
	s_add_i32 s0, s0, s6
	s_ashr_i32 s1, s0, 31
	s_lshl_b64 s[0:1], s[0:1], 2
	s_add_u32 s0, s10, s0
	s_addc_u32 s1, s11, s1
	v_mov_b32_e32 v0, 0
	global_store_dword v0, v1, s[0:1]
.LBB14_22:
	s_endpgm
	.section	.rodata,"a",@progbits
	.p2align	6, 0x0
	.amdhsa_kernel _ZL25flash_attn_mask_to_KV_maxILi4EEvPK7__half2Piiii
		.amdhsa_group_segment_fixed_size 128
		.amdhsa_private_segment_fixed_size 0
		.amdhsa_kernarg_size 288
		.amdhsa_user_sgpr_count 6
		.amdhsa_user_sgpr_private_segment_buffer 1
		.amdhsa_user_sgpr_dispatch_ptr 0
		.amdhsa_user_sgpr_queue_ptr 0
		.amdhsa_user_sgpr_kernarg_segment_ptr 1
		.amdhsa_user_sgpr_dispatch_id 0
		.amdhsa_user_sgpr_flat_scratch_init 0
		.amdhsa_user_sgpr_private_segment_size 0
		.amdhsa_uses_dynamic_stack 0
		.amdhsa_system_sgpr_private_segment_wavefront_offset 0
		.amdhsa_system_sgpr_workgroup_id_x 1
		.amdhsa_system_sgpr_workgroup_id_y 1
		.amdhsa_system_sgpr_workgroup_id_z 0
		.amdhsa_system_sgpr_workgroup_info 0
		.amdhsa_system_vgpr_workitem_id 0
		.amdhsa_next_free_vgpr 12
		.amdhsa_next_free_sgpr 30
		.amdhsa_reserve_vcc 1
		.amdhsa_reserve_flat_scratch 0
		.amdhsa_float_round_mode_32 0
		.amdhsa_float_round_mode_16_64 0
		.amdhsa_float_denorm_mode_32 3
		.amdhsa_float_denorm_mode_16_64 3
		.amdhsa_dx10_clamp 1
		.amdhsa_ieee_mode 1
		.amdhsa_fp16_overflow 0
		.amdhsa_exception_fp_ieee_invalid_op 0
		.amdhsa_exception_fp_denorm_src 0
		.amdhsa_exception_fp_ieee_div_zero 0
		.amdhsa_exception_fp_ieee_overflow 0
		.amdhsa_exception_fp_ieee_underflow 0
		.amdhsa_exception_fp_ieee_inexact 0
		.amdhsa_exception_int_div_zero 0
	.end_amdhsa_kernel
	.section	.text._ZL25flash_attn_mask_to_KV_maxILi4EEvPK7__half2Piiii,"axG",@progbits,_ZL25flash_attn_mask_to_KV_maxILi4EEvPK7__half2Piiii,comdat
.Lfunc_end14:
	.size	_ZL25flash_attn_mask_to_KV_maxILi4EEvPK7__half2Piiii, .Lfunc_end14-_ZL25flash_attn_mask_to_KV_maxILi4EEvPK7__half2Piiii
                                        ; -- End function
	.set _ZL25flash_attn_mask_to_KV_maxILi4EEvPK7__half2Piiii.num_vgpr, 12
	.set _ZL25flash_attn_mask_to_KV_maxILi4EEvPK7__half2Piiii.num_agpr, 0
	.set _ZL25flash_attn_mask_to_KV_maxILi4EEvPK7__half2Piiii.numbered_sgpr, 30
	.set _ZL25flash_attn_mask_to_KV_maxILi4EEvPK7__half2Piiii.num_named_barrier, 0
	.set _ZL25flash_attn_mask_to_KV_maxILi4EEvPK7__half2Piiii.private_seg_size, 0
	.set _ZL25flash_attn_mask_to_KV_maxILi4EEvPK7__half2Piiii.uses_vcc, 1
	.set _ZL25flash_attn_mask_to_KV_maxILi4EEvPK7__half2Piiii.uses_flat_scratch, 0
	.set _ZL25flash_attn_mask_to_KV_maxILi4EEvPK7__half2Piiii.has_dyn_sized_stack, 0
	.set _ZL25flash_attn_mask_to_KV_maxILi4EEvPK7__half2Piiii.has_recursion, 0
	.set _ZL25flash_attn_mask_to_KV_maxILi4EEvPK7__half2Piiii.has_indirect_call, 0
	.section	.AMDGPU.csdata,"",@progbits
; Kernel info:
; codeLenInByte = 1008
; TotalNumSgprs: 34
; NumVgprs: 12
; ScratchSize: 0
; MemoryBound: 0
; FloatMode: 240
; IeeeMode: 1
; LDSByteSize: 128 bytes/workgroup (compile time only)
; SGPRBlocks: 4
; VGPRBlocks: 2
; NumSGPRsForWavesPerEU: 34
; NumVGPRsForWavesPerEU: 12
; Occupancy: 10
; WaveLimiterHint : 0
; COMPUTE_PGM_RSRC2:SCRATCH_EN: 0
; COMPUTE_PGM_RSRC2:USER_SGPR: 6
; COMPUTE_PGM_RSRC2:TRAP_HANDLER: 0
; COMPUTE_PGM_RSRC2:TGID_X_EN: 1
; COMPUTE_PGM_RSRC2:TGID_Y_EN: 1
; COMPUTE_PGM_RSRC2:TGID_Z_EN: 0
; COMPUTE_PGM_RSRC2:TIDIG_COMP_CNT: 0
	.section	.text._ZL33flash_attn_stream_k_fixup_uniformILi512ELi4ELi4EEvPfPK15HIP_vector_typeIfLj2EEiiiiiiS1_IjLj3EES5_S5_,"axG",@progbits,_ZL33flash_attn_stream_k_fixup_uniformILi512ELi4ELi4EEvPfPK15HIP_vector_typeIfLj2EEiiiiiiS1_IjLj3EES5_S5_,comdat
	.globl	_ZL33flash_attn_stream_k_fixup_uniformILi512ELi4ELi4EEvPfPK15HIP_vector_typeIfLj2EEiiiiiiS1_IjLj3EES5_S5_ ; -- Begin function _ZL33flash_attn_stream_k_fixup_uniformILi512ELi4ELi4EEvPfPK15HIP_vector_typeIfLj2EEiiiiiiS1_IjLj3EES5_S5_
	.p2align	8
	.type	_ZL33flash_attn_stream_k_fixup_uniformILi512ELi4ELi4EEvPfPK15HIP_vector_typeIfLj2EEiiiiiiS1_IjLj3EES5_S5_,@function
_ZL33flash_attn_stream_k_fixup_uniformILi512ELi4ELi4EEvPfPK15HIP_vector_typeIfLj2EEiiiiiiS1_IjLj3EES5_S5_: ; @_ZL33flash_attn_stream_k_fixup_uniformILi512ELi4ELi4EEvPfPK15HIP_vector_typeIfLj2EEiiiiiiS1_IjLj3EES5_S5_
; %bb.0:
	s_load_dwordx8 s[12:19], s[4:5], 0x1c
	s_load_dwordx2 s[10:11], s[4:5], 0x10
	s_load_dwordx4 s[0:3], s[4:5], 0x3c
	s_waitcnt lgkmcnt(0)
	s_mul_hi_u32 s9, s15, s6
	s_add_i32 s9, s6, s9
	s_lshr_b32 s9, s9, s16
	s_mul_i32 s15, s9, s17
	s_sub_i32 s15, s6, s15
	s_mul_hi_u32 s16, s15, s18
	s_add_i32 s16, s15, s16
	s_lshr_b32 s16, s16, s19
	s_mul_i32 s0, s16, s0
	s_sub_i32 s0, s15, s0
	;; [unrolled: 5-line block ×3, first 2 shown]
	s_lshl_b32 s0, s17, 2
	s_lshl_b32 s15, s1, 2
	s_add_i32 s0, s0, s7
	s_cmp_lt_i32 s0, s10
	s_cselect_b64 s[0:1], -1, 0
	s_add_i32 s2, s15, s8
	s_cmp_lt_i32 s2, s13
	s_cselect_b64 s[2:3], -1, 0
	s_and_b64 s[0:1], s[0:1], s[2:3]
	s_andn2_b64 vcc, exec, s[0:1]
	s_cbranch_vccnz .LBB15_6
; %bb.1:
	s_load_dwordx4 s[0:3], s[4:5], 0x0
	s_mul_i32 s4, s9, s10
	s_add_i32 s4, s4, s7
	s_mul_i32 s4, s4, s11
	s_mul_i32 s16, s16, s13
	s_add_i32 s4, s4, s8
	s_add_i32 s4, s4, s16
	s_mul_i32 s5, s11, s17
	s_add_i32 s4, s4, s15
	s_lshl_b32 s5, s5, 11
	s_lshl_b32 s4, s4, 9
	s_add_i32 s5, s5, s4
	v_or_b32_e32 v1, s5, v0
	v_ashrrev_i32_e32 v2, 31, v1
	v_lshlrev_b64 v[1:2], 2, v[1:2]
	s_waitcnt lgkmcnt(0)
	v_mov_b32_e32 v3, s1
	v_add_co_u32_e32 v1, vcc, s0, v1
	v_addc_co_u32_e32 v2, vcc, v3, v2, vcc
	global_load_dword v8, v[1:2], off
	s_mul_i32 s9, s14, s6
	s_lshl_b32 s4, s7, 2
	s_add_i32 s11, s9, s14
	s_add_i32 s0, s4, s8
	s_lshl_b32 s1, s11, 4
	s_add_i32 s0, s0, s1
	s_add_i32 s0, s0, -16
	s_ashr_i32 s1, s0, 31
	s_lshl_b64 s[0:1], s[0:1], 3
	s_add_u32 s0, s2, s0
	s_addc_u32 s1, s3, s1
	s_load_dword s5, s[0:1], 0x4
	s_add_i32 s10, s11, -2
	s_cmp_lt_i32 s10, s9
	s_cbranch_scc1 .LBB15_4
; %bb.2:
	s_lshl_b32 s16, s12, 6
	s_ashr_i32 s17, s16, 31
	s_lshl_b64 s[16:17], s[16:17], 2
	s_add_u32 s10, s2, s16
	s_addc_u32 s13, s3, s17
	s_add_i32 s6, s6, 1
	s_load_dword s0, s[0:1], 0x0
	s_mul_i32 s1, s14, s6
	s_lshl_b32 s7, s7, 11
	s_lshl_b32 s14, s8, 9
	;; [unrolled: 1-line block ×3, first 2 shown]
	s_add_i32 s7, s14, s7
	s_lshl_b32 s1, s1, 4
	s_add_i32 s7, s7, s6
	s_add_i32 s1, s8, s1
	s_lshl_b32 s6, s12, 4
	s_add_i32 s1, s1, s6
	v_or_b32_e32 v0, s7, v0
	s_add_i32 s1, s1, s4
	s_add_i32 s11, s11, -1
	v_add_u32_e32 v3, 0xffffc000, v0
	s_sub_i32 s4, s1, 32
	s_waitcnt lgkmcnt(0)
	v_mov_b32_e32 v7, s5
	v_mov_b32_e32 v6, s0
	;; [unrolled: 1-line block ×3, first 2 shown]
	s_mov_b32 s6, 0x3fb8aa3b
	s_mov_b32 s7, 0xc2ce8ed0
	;; [unrolled: 1-line block ×3, first 2 shown]
	v_mov_b32_e32 v5, 0x7f800000
	s_mov_b32 s12, 0xc1a00000
.LBB15_3:                               ; =>This Inner Loop Header: Depth=1
	v_ashrrev_i32_e32 v4, 31, v3
	v_lshlrev_b64 v[9:10], 2, v[3:4]
	s_ashr_i32 s5, s4, 31
	v_add_co_u32_e32 v9, vcc, s10, v9
	v_addc_co_u32_e32 v10, vcc, v0, v10, vcc
	global_load_dword v4, v[9:10], off
	s_lshl_b64 s[0:1], s[4:5], 3
	s_add_u32 s0, s2, s0
	s_addc_u32 s1, s3, s1
	s_load_dwordx2 s[14:15], s[0:1], 0x0
	s_waitcnt vmcnt(1)
	v_mov_b32_e32 v9, v8
	v_max_f32_e32 v8, v6, v6
	v_mov_b32_e32 v10, v7
	s_add_i32 s11, s11, -1
	s_waitcnt lgkmcnt(0)
	v_max_f32_e64 v7, s14, s14
	v_max_f32_e32 v7, v8, v7
	v_sub_f32_e32 v11, s14, v7
	v_sub_f32_e32 v8, v6, v7
	v_mul_f32_e32 v12, 0x3fb8aa3b, v11
	v_mov_b32_e32 v6, v7
	v_mul_f32_e32 v7, 0x3fb8aa3b, v8
	v_fma_f32 v15, v11, s6, -v12
	v_rndne_f32_e32 v16, v12
	v_fma_f32 v13, v8, s6, -v7
	v_rndne_f32_e32 v14, v7
	v_fmac_f32_e32 v15, 0x32a5705f, v11
	v_sub_f32_e32 v12, v12, v16
	v_fmac_f32_e32 v13, 0x32a5705f, v8
	v_sub_f32_e32 v7, v7, v14
	v_add_f32_e32 v12, v12, v15
	v_cvt_i32_f32_e32 v16, v16
	v_add_f32_e32 v7, v7, v13
	v_exp_f32_e32 v12, v12
	v_cvt_i32_f32_e32 v14, v14
	v_exp_f32_e32 v7, v7
	v_cmp_ngt_f32_e32 vcc, s7, v11
	v_ldexp_f32 v12, v12, v16
	v_cmp_ngt_f32_e64 s[0:1], s7, v8
	v_ldexp_f32 v7, v7, v14
	v_cndmask_b32_e32 v12, 0, v12, vcc
	v_cmp_nlt_f32_e32 vcc, s8, v11
	v_cndmask_b32_e64 v7, 0, v7, s[0:1]
	v_cmp_nlt_f32_e64 s[0:1], s8, v8
	v_cndmask_b32_e32 v12, v5, v12, vcc
	v_cmp_le_f32_e32 vcc, s12, v11
	v_cndmask_b32_e64 v7, v5, v7, s[0:1]
	v_cmp_le_f32_e64 s[0:1], s12, v8
	v_cndmask_b32_e32 v8, 0, v12, vcc
	s_add_i32 s4, s4, -16
	v_cndmask_b32_e64 v11, 0, v7, s[0:1]
	v_mul_f32_e32 v7, s15, v8
	v_add_u32_e32 v3, 0xffffe000, v3
	s_cmp_le_i32 s11, s9
	v_fmac_f32_e32 v7, v10, v11
	s_waitcnt vmcnt(0)
	v_mul_f32_e32 v8, v4, v8
	v_fmac_f32_e32 v8, v9, v11
	s_cbranch_scc0 .LBB15_3
	s_branch .LBB15_5
.LBB15_4:
	s_waitcnt lgkmcnt(0)
	v_mov_b32_e32 v7, s5
.LBB15_5:
	s_waitcnt vmcnt(0)
	v_div_scale_f32 v0, s[0:1], v7, v7, v8
	v_div_scale_f32 v3, vcc, v8, v7, v8
	v_rcp_f32_e32 v4, v0
	v_fma_f32 v5, -v0, v4, 1.0
	v_fmac_f32_e32 v4, v5, v4
	v_mul_f32_e32 v5, v3, v4
	v_fma_f32 v6, -v0, v5, v3
	v_fmac_f32_e32 v5, v6, v4
	v_fma_f32 v0, -v0, v5, v3
	v_div_fmas_f32 v0, v0, v4, v5
	v_div_fixup_f32 v0, v0, v7, v8
	global_store_dword v[1:2], v0, off
.LBB15_6:
	s_endpgm
	.section	.rodata,"a",@progbits
	.p2align	6, 0x0
	.amdhsa_kernel _ZL33flash_attn_stream_k_fixup_uniformILi512ELi4ELi4EEvPfPK15HIP_vector_typeIfLj2EEiiiiiiS1_IjLj3EES5_S5_
		.amdhsa_group_segment_fixed_size 0
		.amdhsa_private_segment_fixed_size 0
		.amdhsa_kernarg_size 76
		.amdhsa_user_sgpr_count 6
		.amdhsa_user_sgpr_private_segment_buffer 1
		.amdhsa_user_sgpr_dispatch_ptr 0
		.amdhsa_user_sgpr_queue_ptr 0
		.amdhsa_user_sgpr_kernarg_segment_ptr 1
		.amdhsa_user_sgpr_dispatch_id 0
		.amdhsa_user_sgpr_flat_scratch_init 0
		.amdhsa_user_sgpr_private_segment_size 0
		.amdhsa_uses_dynamic_stack 0
		.amdhsa_system_sgpr_private_segment_wavefront_offset 0
		.amdhsa_system_sgpr_workgroup_id_x 1
		.amdhsa_system_sgpr_workgroup_id_y 1
		.amdhsa_system_sgpr_workgroup_id_z 1
		.amdhsa_system_sgpr_workgroup_info 0
		.amdhsa_system_vgpr_workitem_id 0
		.amdhsa_next_free_vgpr 17
		.amdhsa_next_free_sgpr 20
		.amdhsa_reserve_vcc 1
		.amdhsa_reserve_flat_scratch 0
		.amdhsa_float_round_mode_32 0
		.amdhsa_float_round_mode_16_64 0
		.amdhsa_float_denorm_mode_32 3
		.amdhsa_float_denorm_mode_16_64 3
		.amdhsa_dx10_clamp 1
		.amdhsa_ieee_mode 1
		.amdhsa_fp16_overflow 0
		.amdhsa_exception_fp_ieee_invalid_op 0
		.amdhsa_exception_fp_denorm_src 0
		.amdhsa_exception_fp_ieee_div_zero 0
		.amdhsa_exception_fp_ieee_overflow 0
		.amdhsa_exception_fp_ieee_underflow 0
		.amdhsa_exception_fp_ieee_inexact 0
		.amdhsa_exception_int_div_zero 0
	.end_amdhsa_kernel
	.section	.text._ZL33flash_attn_stream_k_fixup_uniformILi512ELi4ELi4EEvPfPK15HIP_vector_typeIfLj2EEiiiiiiS1_IjLj3EES5_S5_,"axG",@progbits,_ZL33flash_attn_stream_k_fixup_uniformILi512ELi4ELi4EEvPfPK15HIP_vector_typeIfLj2EEiiiiiiS1_IjLj3EES5_S5_,comdat
.Lfunc_end15:
	.size	_ZL33flash_attn_stream_k_fixup_uniformILi512ELi4ELi4EEvPfPK15HIP_vector_typeIfLj2EEiiiiiiS1_IjLj3EES5_S5_, .Lfunc_end15-_ZL33flash_attn_stream_k_fixup_uniformILi512ELi4ELi4EEvPfPK15HIP_vector_typeIfLj2EEiiiiiiS1_IjLj3EES5_S5_
                                        ; -- End function
	.set _ZL33flash_attn_stream_k_fixup_uniformILi512ELi4ELi4EEvPfPK15HIP_vector_typeIfLj2EEiiiiiiS1_IjLj3EES5_S5_.num_vgpr, 17
	.set _ZL33flash_attn_stream_k_fixup_uniformILi512ELi4ELi4EEvPfPK15HIP_vector_typeIfLj2EEiiiiiiS1_IjLj3EES5_S5_.num_agpr, 0
	.set _ZL33flash_attn_stream_k_fixup_uniformILi512ELi4ELi4EEvPfPK15HIP_vector_typeIfLj2EEiiiiiiS1_IjLj3EES5_S5_.numbered_sgpr, 20
	.set _ZL33flash_attn_stream_k_fixup_uniformILi512ELi4ELi4EEvPfPK15HIP_vector_typeIfLj2EEiiiiiiS1_IjLj3EES5_S5_.num_named_barrier, 0
	.set _ZL33flash_attn_stream_k_fixup_uniformILi512ELi4ELi4EEvPfPK15HIP_vector_typeIfLj2EEiiiiiiS1_IjLj3EES5_S5_.private_seg_size, 0
	.set _ZL33flash_attn_stream_k_fixup_uniformILi512ELi4ELi4EEvPfPK15HIP_vector_typeIfLj2EEiiiiiiS1_IjLj3EES5_S5_.uses_vcc, 1
	.set _ZL33flash_attn_stream_k_fixup_uniformILi512ELi4ELi4EEvPfPK15HIP_vector_typeIfLj2EEiiiiiiS1_IjLj3EES5_S5_.uses_flat_scratch, 0
	.set _ZL33flash_attn_stream_k_fixup_uniformILi512ELi4ELi4EEvPfPK15HIP_vector_typeIfLj2EEiiiiiiS1_IjLj3EES5_S5_.has_dyn_sized_stack, 0
	.set _ZL33flash_attn_stream_k_fixup_uniformILi512ELi4ELi4EEvPfPK15HIP_vector_typeIfLj2EEiiiiiiS1_IjLj3EES5_S5_.has_recursion, 0
	.set _ZL33flash_attn_stream_k_fixup_uniformILi512ELi4ELi4EEvPfPK15HIP_vector_typeIfLj2EEiiiiiiS1_IjLj3EES5_S5_.has_indirect_call, 0
	.section	.AMDGPU.csdata,"",@progbits
; Kernel info:
; codeLenInByte = 856
; TotalNumSgprs: 24
; NumVgprs: 17
; ScratchSize: 0
; MemoryBound: 0
; FloatMode: 240
; IeeeMode: 1
; LDSByteSize: 0 bytes/workgroup (compile time only)
; SGPRBlocks: 2
; VGPRBlocks: 4
; NumSGPRsForWavesPerEU: 24
; NumVGPRsForWavesPerEU: 17
; Occupancy: 10
; WaveLimiterHint : 0
; COMPUTE_PGM_RSRC2:SCRATCH_EN: 0
; COMPUTE_PGM_RSRC2:USER_SGPR: 6
; COMPUTE_PGM_RSRC2:TRAP_HANDLER: 0
; COMPUTE_PGM_RSRC2:TGID_X_EN: 1
; COMPUTE_PGM_RSRC2:TGID_Y_EN: 1
; COMPUTE_PGM_RSRC2:TGID_Z_EN: 1
; COMPUTE_PGM_RSRC2:TIDIG_COMP_CNT: 0
	.section	.text._ZL33flash_attn_stream_k_fixup_generalILi512ELi4ELi4EEvPfPK15HIP_vector_typeIfLj2EEiiiiS1_IjLj3EES5_S5_S5_,"axG",@progbits,_ZL33flash_attn_stream_k_fixup_generalILi512ELi4ELi4EEvPfPK15HIP_vector_typeIfLj2EEiiiiS1_IjLj3EES5_S5_S5_,comdat
	.globl	_ZL33flash_attn_stream_k_fixup_generalILi512ELi4ELi4EEvPfPK15HIP_vector_typeIfLj2EEiiiiS1_IjLj3EES5_S5_S5_ ; -- Begin function _ZL33flash_attn_stream_k_fixup_generalILi512ELi4ELi4EEvPfPK15HIP_vector_typeIfLj2EEiiiiS1_IjLj3EES5_S5_S5_
	.p2align	8
	.type	_ZL33flash_attn_stream_k_fixup_generalILi512ELi4ELi4EEvPfPK15HIP_vector_typeIfLj2EEiiiiS1_IjLj3EES5_S5_S5_,@function
_ZL33flash_attn_stream_k_fixup_generalILi512ELi4ELi4EEvPfPK15HIP_vector_typeIfLj2EEiiiiS1_IjLj3EES5_S5_S5_: ; @_ZL33flash_attn_stream_k_fixup_generalILi512ELi4ELi4EEvPfPK15HIP_vector_typeIfLj2EEiiiiS1_IjLj3EES5_S5_S5_
; %bb.0:
	s_load_dwordx4 s[0:3], s[4:5], 0x10
	s_load_dword s22, s[4:5], 0x50
	s_mov_b32 s12, 0
	s_waitcnt lgkmcnt(0)
	s_mul_hi_i32 s13, s3, s6
	s_cmp_lg_u64 s[12:13], 0
	s_mul_i32 s9, s3, s6
	s_cbranch_scc0 .LBB16_20
; %bb.1:
	s_add_u32 s10, s22, 0
	s_addc_u32 s11, 0, 0
	s_xor_b64 s[10:11], s[10:11], 0
	v_cvt_f32_u32_e32 v1, s10
	v_cvt_f32_u32_e32 v2, s11
	s_sub_u32 s12, 0, s10
	s_subb_u32 s18, 0, s11
	v_madmk_f32 v1, v2, 0x4f800000, v1
	v_rcp_f32_e32 v1, v1
	v_mul_f32_e32 v1, 0x5f7ffffc, v1
	v_mul_f32_e32 v2, 0x2f800000, v1
	v_trunc_f32_e32 v2, v2
	v_madmk_f32 v1, v2, 0xcf800000, v1
	v_cvt_u32_f32_e32 v2, v2
	v_cvt_u32_f32_e32 v1, v1
	v_readfirstlane_b32 s19, v2
	v_readfirstlane_b32 s14, v1
	s_mul_i32 s15, s12, s19
	s_mul_hi_u32 s21, s12, s14
	s_mul_i32 s20, s18, s14
	s_add_i32 s15, s21, s15
	s_add_i32 s15, s15, s20
	s_mul_i32 s23, s12, s14
	s_mul_i32 s21, s14, s15
	s_mul_hi_u32 s24, s14, s23
	s_mul_hi_u32 s20, s14, s15
	s_add_u32 s21, s24, s21
	s_addc_u32 s20, 0, s20
	s_mul_hi_u32 s25, s19, s23
	s_mul_i32 s23, s19, s23
	s_add_u32 s21, s21, s23
	s_mul_hi_u32 s24, s19, s15
	s_addc_u32 s20, s20, s25
	s_addc_u32 s21, s24, 0
	s_mul_i32 s15, s19, s15
	s_add_u32 s15, s20, s15
	s_addc_u32 s20, 0, s21
	s_add_u32 s21, s14, s15
	s_cselect_b64 s[14:15], -1, 0
	s_cmp_lg_u64 s[14:15], 0
	s_addc_u32 s19, s19, s20
	s_mul_i32 s14, s12, s19
	s_mul_hi_u32 s15, s12, s21
	s_add_i32 s14, s15, s14
	s_mul_i32 s18, s18, s21
	s_add_i32 s14, s14, s18
	s_mul_i32 s12, s12, s21
	s_mul_hi_u32 s18, s19, s12
	s_mul_i32 s20, s19, s12
	s_mul_i32 s24, s21, s14
	s_mul_hi_u32 s12, s21, s12
	s_mul_hi_u32 s23, s21, s14
	s_add_u32 s12, s12, s24
	s_addc_u32 s23, 0, s23
	s_add_u32 s12, s12, s20
	s_mul_hi_u32 s15, s19, s14
	s_addc_u32 s12, s23, s18
	s_addc_u32 s15, s15, 0
	s_mul_i32 s14, s19, s14
	s_add_u32 s12, s12, s14
	s_addc_u32 s18, 0, s15
	s_add_u32 s20, s21, s12
	s_cselect_b64 s[14:15], -1, 0
	s_cmp_lg_u64 s[14:15], 0
	s_addc_u32 s18, s19, s18
	s_ashr_i32 s14, s13, 31
	s_add_u32 s12, s9, s14
	s_mov_b32 s15, s14
	s_addc_u32 s13, s13, s14
	s_xor_b64 s[12:13], s[12:13], s[14:15]
	s_mul_i32 s21, s12, s18
	s_mul_hi_u32 s23, s12, s20
	s_mul_hi_u32 s19, s12, s18
	s_add_u32 s21, s23, s21
	s_addc_u32 s19, 0, s19
	s_mul_hi_u32 s24, s13, s20
	s_mul_i32 s20, s13, s20
	s_add_u32 s20, s21, s20
	s_mul_hi_u32 s23, s13, s18
	s_addc_u32 s19, s19, s24
	s_addc_u32 s20, s23, 0
	s_mul_i32 s18, s13, s18
	s_add_u32 s23, s19, s18
	s_addc_u32 s24, 0, s20
	s_mul_i32 s18, s10, s24
	s_mul_hi_u32 s19, s10, s23
	s_add_i32 s18, s19, s18
	s_mul_i32 s19, s11, s23
	s_add_i32 s25, s18, s19
	s_sub_i32 s20, s13, s25
	s_mul_i32 s18, s10, s23
	s_sub_u32 s12, s12, s18
	s_cselect_b64 s[18:19], -1, 0
	s_cmp_lg_u64 s[18:19], 0
	s_subb_u32 s26, s20, s11
	s_sub_u32 s27, s12, s10
	s_cselect_b64 s[20:21], -1, 0
	s_cmp_lg_u64 s[20:21], 0
	s_subb_u32 s20, s26, 0
	s_cmp_ge_u32 s20, s11
	s_cselect_b32 s21, -1, 0
	s_cmp_ge_u32 s27, s10
	s_cselect_b32 s26, -1, 0
	s_cmp_eq_u32 s20, s11
	s_cselect_b32 s20, s26, s21
	s_add_u32 s21, s23, 1
	s_addc_u32 s26, s24, 0
	s_add_u32 s27, s23, 2
	s_addc_u32 s28, s24, 0
	s_cmp_lg_u32 s20, 0
	s_cselect_b32 s20, s27, s21
	s_cselect_b32 s21, s28, s26
	s_cmp_lg_u64 s[18:19], 0
	s_subb_u32 s13, s13, s25
	s_cmp_ge_u32 s13, s11
	s_cselect_b32 s18, -1, 0
	s_cmp_ge_u32 s12, s10
	s_cselect_b32 s10, -1, 0
	s_cmp_eq_u32 s13, s11
	s_cselect_b32 s10, s10, s18
	s_cmp_lg_u32 s10, 0
	s_cselect_b32 s11, s21, s24
	s_cselect_b32 s10, s20, s23
	s_xor_b64 s[12:13], s[14:15], 0
	s_xor_b64 s[10:11], s[10:11], s[12:13]
	s_sub_u32 s10, s10, s12
	s_load_dwordx4 s[12:15], s[4:5], 0x44
	s_cbranch_execnz .LBB16_3
.LBB16_2:
	v_cvt_f32_u32_e32 v1, s22
	s_sub_i32 s10, 0, s22
	v_rcp_iflag_f32_e32 v1, v1
	v_mul_f32_e32 v1, 0x4f7ffffe, v1
	v_cvt_u32_f32_e32 v1, v1
	v_readfirstlane_b32 s11, v1
	s_mul_i32 s10, s10, s11
	s_mul_hi_u32 s10, s11, s10
	s_add_i32 s11, s11, s10
	s_mul_hi_u32 s10, s9, s11
	s_waitcnt lgkmcnt(0)
	s_mul_i32 s15, s10, s22
	s_sub_i32 s9, s9, s15
	s_add_i32 s11, s10, 1
	s_sub_i32 s15, s9, s22
	s_cmp_ge_u32 s9, s22
	s_cselect_b32 s10, s11, s10
	s_cselect_b32 s9, s15, s9
	s_add_i32 s11, s10, 1
	s_cmp_ge_u32 s9, s22
	s_cselect_b32 s10, s11, s10
.LBB16_3:
	s_add_i32 s9, s6, 1
	s_mul_hi_i32 s21, s3, s9
	s_mov_b32 s20, 0
	s_cmp_lg_u64 s[20:21], 0
	s_mul_i32 s9, s3, s9
	s_cbranch_scc0 .LBB16_21
; %bb.4:
	s_add_u32 s16, s22, 0
	s_addc_u32 s17, 0, 0
	s_xor_b64 s[18:19], s[16:17], 0
	v_cvt_f32_u32_e32 v1, s18
	v_cvt_f32_u32_e32 v2, s19
	s_sub_u32 s11, 0, s18
	s_waitcnt lgkmcnt(0)
	s_subb_u32 s15, 0, s19
	v_madmk_f32 v1, v2, 0x4f800000, v1
	v_rcp_f32_e32 v1, v1
	v_mul_f32_e32 v1, 0x5f7ffffc, v1
	v_mul_f32_e32 v2, 0x2f800000, v1
	v_trunc_f32_e32 v2, v2
	v_madmk_f32 v1, v2, 0xcf800000, v1
	v_cvt_u32_f32_e32 v2, v2
	v_cvt_u32_f32_e32 v1, v1
	v_readfirstlane_b32 s20, v2
	v_readfirstlane_b32 s23, v1
	s_mul_i32 s24, s11, s20
	s_mul_hi_u32 s26, s11, s23
	s_mul_i32 s25, s15, s23
	s_add_i32 s24, s26, s24
	s_add_i32 s24, s24, s25
	s_mul_i32 s27, s11, s23
	s_mul_i32 s26, s23, s24
	s_mul_hi_u32 s28, s23, s27
	s_mul_hi_u32 s25, s23, s24
	s_add_u32 s26, s28, s26
	s_addc_u32 s25, 0, s25
	s_mul_hi_u32 s29, s20, s27
	s_mul_i32 s27, s20, s27
	s_add_u32 s26, s26, s27
	s_mul_hi_u32 s28, s20, s24
	s_addc_u32 s25, s25, s29
	s_addc_u32 s26, s28, 0
	s_mul_i32 s24, s20, s24
	s_add_u32 s24, s25, s24
	s_addc_u32 s26, 0, s26
	s_add_u32 s23, s23, s24
	s_cselect_b64 s[24:25], -1, 0
	s_cmp_lg_u64 s[24:25], 0
	s_addc_u32 s20, s20, s26
	s_mul_i32 s24, s11, s20
	s_mul_hi_u32 s25, s11, s23
	s_add_i32 s24, s25, s24
	s_mul_i32 s15, s15, s23
	s_add_i32 s24, s24, s15
	s_mul_i32 s11, s11, s23
	s_mul_hi_u32 s25, s20, s11
	s_mul_i32 s26, s20, s11
	s_mul_i32 s28, s23, s24
	s_mul_hi_u32 s11, s23, s11
	s_mul_hi_u32 s27, s23, s24
	s_add_u32 s11, s11, s28
	s_addc_u32 s27, 0, s27
	s_add_u32 s11, s11, s26
	s_mul_hi_u32 s15, s20, s24
	s_addc_u32 s11, s27, s25
	s_addc_u32 s15, s15, 0
	s_mul_i32 s24, s20, s24
	s_add_u32 s11, s11, s24
	s_addc_u32 s15, 0, s15
	s_add_u32 s11, s23, s11
	s_cselect_b64 s[24:25], -1, 0
	s_cmp_lg_u64 s[24:25], 0
	s_addc_u32 s15, s20, s15
	s_ashr_i32 s24, s21, 31
	s_add_u32 s20, s9, s24
	s_mov_b32 s25, s24
	s_addc_u32 s21, s21, s24
	s_xor_b64 s[20:21], s[20:21], s[24:25]
	s_mul_i32 s26, s20, s15
	s_mul_hi_u32 s27, s20, s11
	s_mul_hi_u32 s23, s20, s15
	s_add_u32 s26, s27, s26
	s_addc_u32 s23, 0, s23
	s_mul_hi_u32 s28, s21, s11
	s_mul_i32 s11, s21, s11
	s_add_u32 s11, s26, s11
	s_mul_hi_u32 s27, s21, s15
	s_addc_u32 s11, s23, s28
	s_addc_u32 s23, s27, 0
	s_mul_i32 s15, s21, s15
	s_add_u32 s11, s11, s15
	s_addc_u32 s15, 0, s23
	s_mul_i32 s23, s18, s15
	s_mul_hi_u32 s26, s18, s11
	s_add_i32 s23, s26, s23
	s_mul_i32 s26, s19, s11
	s_add_i32 s23, s23, s26
	s_sub_i32 s28, s21, s23
	s_mul_i32 s26, s18, s11
	s_sub_u32 s20, s20, s26
	s_cselect_b64 s[26:27], -1, 0
	s_cmp_lg_u64 s[26:27], 0
	s_subb_u32 s30, s28, s19
	s_sub_u32 s31, s20, s18
	s_cselect_b64 s[28:29], -1, 0
	s_cmp_lg_u64 s[28:29], 0
	s_subb_u32 s28, s30, 0
	s_cmp_ge_u32 s28, s19
	s_cselect_b32 s29, -1, 0
	s_cmp_ge_u32 s31, s18
	s_cselect_b32 s30, -1, 0
	s_cmp_eq_u32 s28, s19
	s_cselect_b32 s28, s30, s29
	s_add_u32 s29, s11, 1
	s_addc_u32 s30, s15, 0
	s_add_u32 s31, s11, 2
	s_addc_u32 s33, s15, 0
	s_cmp_lg_u32 s28, 0
	s_cselect_b32 s28, s31, s29
	s_cselect_b32 s29, s33, s30
	s_cmp_lg_u64 s[26:27], 0
	s_subb_u32 s21, s21, s23
	s_cmp_ge_u32 s21, s19
	s_cselect_b32 s23, -1, 0
	s_cmp_ge_u32 s20, s18
	s_cselect_b32 s18, -1, 0
	s_cmp_eq_u32 s21, s19
	s_cselect_b32 s18, s18, s23
	s_cmp_lg_u32 s18, 0
	s_cselect_b32 s19, s29, s15
	s_cselect_b32 s18, s28, s11
	s_xor_b64 s[20:21], s[24:25], 0
	s_xor_b64 s[18:19], s[18:19], s[20:21]
	s_sub_u32 s18, s18, s20
	s_cbranch_execnz .LBB16_6
.LBB16_5:
	v_cvt_f32_u32_e32 v1, s22
	s_sub_i32 s11, 0, s22
	v_rcp_iflag_f32_e32 v1, v1
	v_mul_f32_e32 v1, 0x4f7ffffe, v1
	v_cvt_u32_f32_e32 v1, v1
	s_waitcnt lgkmcnt(0)
	v_readfirstlane_b32 s15, v1
	s_mul_i32 s11, s11, s15
	s_mul_hi_u32 s11, s15, s11
	s_add_i32 s15, s15, s11
	s_mul_hi_u32 s11, s9, s15
	s_mul_i32 s16, s11, s22
	s_sub_i32 s9, s9, s16
	s_add_i32 s15, s11, 1
	s_sub_i32 s16, s9, s22
	s_cmp_ge_u32 s9, s22
	s_cselect_b32 s11, s15, s11
	s_cselect_b32 s9, s16, s9
	s_add_i32 s15, s11, 1
	s_cmp_ge_u32 s9, s22
	s_cselect_b32 s18, s15, s11
.LBB16_6:
	s_cmp_eq_u32 s10, s18
	s_waitcnt lgkmcnt(0)
	s_mul_hi_u32 s9, s10, s12
	s_cselect_b64 s[16:17], -1, 0
	s_add_i32 s9, s9, s10
	s_lshr_b32 s11, s9, s13
	s_mul_i32 s9, s11, s14
	s_cmp_eq_u32 s9, s10
	s_mul_hi_u32 s9, s18, s12
	s_cselect_b64 s[20:21], -1, 0
	s_add_i32 s9, s9, s18
	s_lshr_b32 s9, s9, s13
	s_cmp_eq_u32 s11, s9
	s_mul_i32 s9, s9, s14
	s_cselect_b64 s[24:25], -1, 0
	s_cmp_lg_u32 s9, s18
	s_cselect_b64 s[18:19], -1, 0
	s_and_b64 s[18:19], s[24:25], s[18:19]
	s_or_b64 s[16:17], s[16:17], s[20:21]
	s_or_b64 s[16:17], s[16:17], s[18:19]
	s_and_b64 vcc, exec, s[16:17]
	s_cbranch_vccnz .LBB16_23
; %bb.7:
	s_load_dwordx8 s[24:31], s[4:5], 0x20
	s_load_dword s15, s[4:5], 0x40
	s_waitcnt lgkmcnt(0)
	s_mul_hi_u32 s9, s10, s24
	s_add_i32 s9, s9, s10
	s_lshr_b32 s9, s9, s25
	s_mul_i32 s16, s9, s26
	s_sub_i32 s16, s10, s16
	s_mul_hi_u32 s17, s16, s27
	s_add_i32 s17, s16, s17
	s_lshr_b32 s23, s17, s28
	s_mul_i32 s17, s23, s29
	s_sub_i32 s16, s16, s17
	;; [unrolled: 5-line block ×3, first 2 shown]
	s_mul_hi_u32 s16, s15, s12
	s_add_i32 s15, s15, s16
	s_lshr_b32 s25, s15, s13
	s_lshl_b32 s15, s25, 2
	s_lshl_b32 s24, s17, 2
	s_add_i32 s15, s15, s7
	s_cmp_lt_i32 s15, s0
	s_cselect_b64 s[16:17], -1, 0
	s_add_i32 s15, s24, s8
	s_cmp_lt_i32 s15, s2
	s_cselect_b64 s[18:19], -1, 0
	s_and_b64 s[16:17], s[16:17], s[18:19]
	s_andn2_b64 vcc, exec, s[16:17]
	s_cbranch_vccnz .LBB16_23
; %bb.8:
	s_load_dwordx4 s[16:19], s[4:5], 0x0
	s_mov_b32 s4, 0
	s_lshl_b32 s15, s7, 2
	s_lshl_b32 s20, s22, 6
	s_mov_b32 s21, s4
	s_add_i32 s15, s15, s8
	s_lshl_b64 s[20:21], s[20:21], 2
	s_waitcnt lgkmcnt(0)
	s_add_u32 s20, s18, s20
	s_mul_i32 s0, s9, s0
	s_addc_u32 s21, s19, s21
	s_add_i32 s0, s0, s7
	s_mul_i32 s0, s0, s1
	s_mul_i32 s23, s23, s2
	s_add_i32 s0, s0, s8
	s_add_i32 s0, s0, s23
	s_mul_i32 s2, s1, s25
	s_add_i32 s0, s0, s24
	s_lshl_b32 s2, s2, 11
	s_lshl_b32 s0, s0, 9
	s_add_i32 s2, s2, s0
	v_or_b32_e32 v1, s2, v0
	v_ashrrev_i32_e32 v2, 31, v1
	v_lshlrev_b64 v[1:2], 2, v[1:2]
	v_mov_b32_e32 v3, s17
	v_add_co_u32_e32 v1, vcc, s16, v1
	v_addc_co_u32_e32 v2, vcc, v3, v2, vcc
	global_load_dword v3, v[1:2], off
	v_cvt_f32_u32_e32 v4, s22
	s_lshl_b32 s0, s6, 4
	s_add_i32 s0, s15, s0
	s_ashr_i32 s1, s0, 31
	s_lshl_b64 s[0:1], s[0:1], 3
	v_rcp_iflag_f32_e32 v4, v4
	s_add_u32 s0, s18, s0
	s_addc_u32 s1, s19, s1
	s_load_dwordx2 s[0:1], s[0:1], 0x0
	v_mul_f32_e32 v4, 0x4f7ffffe, v4
	v_cvt_u32_f32_e32 v4, v4
	s_add_i32 s24, s6, -1
	v_lshl_or_b32 v0, s15, 9, v0
	s_waitcnt lgkmcnt(0)
	v_mov_b32_e32 v6, s1
	v_mov_b32_e32 v7, s0
	s_mov_b32 s2, 0x3fb8aa3b
	s_mov_b32 s16, 0xc2ce8ed0
	;; [unrolled: 1-line block ×4, first 2 shown]
	v_mov_b32_e32 v5, 0x7f800000
	s_mul_hi_i32 s5, s24, s3
	s_cmp_lg_u64 s[4:5], 0
	s_mul_i32 s8, s24, s3
	s_cbranch_scc0 .LBB16_19
.LBB16_9:
	s_add_u32 s0, s22, 0
	s_addc_u32 s1, 0, 0
	s_xor_b64 s[0:1], s[0:1], 0
	v_cvt_f32_u32_e32 v8, s0
	v_cvt_f32_u32_e32 v9, s1
	s_sub_u32 s9, 0, s0
	s_subb_u32 s25, 0, s1
	v_mac_f32_e32 v8, 0x4f800000, v9
	v_rcp_f32_e32 v8, v8
	v_mul_f32_e32 v8, 0x5f7ffffc, v8
	v_mul_f32_e32 v9, 0x2f800000, v8
	v_trunc_f32_e32 v9, v9
	v_mac_f32_e32 v8, 0xcf800000, v9
	v_cvt_u32_f32_e32 v9, v9
	v_cvt_u32_f32_e32 v8, v8
	v_readfirstlane_b32 s26, v9
	v_readfirstlane_b32 s6, v8
	s_mul_i32 s7, s9, s26
	s_mul_hi_u32 s28, s9, s6
	s_mul_i32 s27, s25, s6
	s_add_i32 s7, s28, s7
	s_mul_i32 s29, s9, s6
	s_add_i32 s7, s7, s27
	s_mul_i32 s28, s6, s7
	s_mul_hi_u32 s30, s6, s29
	s_mul_hi_u32 s27, s6, s7
	s_add_u32 s28, s30, s28
	s_addc_u32 s27, 0, s27
	s_mul_hi_u32 s31, s26, s29
	s_mul_i32 s29, s26, s29
	s_add_u32 s28, s28, s29
	s_mul_hi_u32 s30, s26, s7
	s_addc_u32 s27, s27, s31
	s_addc_u32 s28, s30, 0
	s_mul_i32 s7, s26, s7
	s_add_u32 s7, s27, s7
	s_addc_u32 s27, 0, s28
	s_add_u32 s28, s6, s7
	s_cselect_b64 s[6:7], -1, 0
	s_cmp_lg_u64 s[6:7], 0
	s_addc_u32 s26, s26, s27
	s_mul_i32 s6, s9, s26
	s_mul_hi_u32 s7, s9, s28
	s_add_i32 s6, s7, s6
	s_mul_i32 s25, s25, s28
	s_add_i32 s6, s6, s25
	s_mul_i32 s9, s9, s28
	s_mul_hi_u32 s25, s26, s9
	s_mul_i32 s27, s26, s9
	s_mul_i32 s30, s28, s6
	s_mul_hi_u32 s9, s28, s9
	s_mul_hi_u32 s29, s28, s6
	s_add_u32 s9, s9, s30
	s_addc_u32 s29, 0, s29
	s_add_u32 s9, s9, s27
	s_mul_hi_u32 s7, s26, s6
	s_addc_u32 s9, s29, s25
	s_addc_u32 s7, s7, 0
	s_mul_i32 s6, s26, s6
	s_add_u32 s6, s9, s6
	s_addc_u32 s9, 0, s7
	s_add_u32 s25, s28, s6
	s_cselect_b64 s[6:7], -1, 0
	s_cmp_lg_u64 s[6:7], 0
	s_addc_u32 s9, s26, s9
	s_ashr_i32 s6, s5, 31
	s_add_u32 s26, s8, s6
	s_mov_b32 s7, s6
	s_addc_u32 s27, s5, s6
	s_xor_b64 s[26:27], s[26:27], s[6:7]
	s_mul_i32 s28, s26, s9
	s_mul_hi_u32 s29, s26, s25
	s_mul_hi_u32 s5, s26, s9
	s_add_u32 s28, s29, s28
	s_addc_u32 s5, 0, s5
	s_mul_hi_u32 s30, s27, s25
	s_mul_i32 s25, s27, s25
	s_add_u32 s25, s28, s25
	s_mul_hi_u32 s29, s27, s9
	s_addc_u32 s5, s5, s30
	s_addc_u32 s25, s29, 0
	s_mul_i32 s9, s27, s9
	s_add_u32 s5, s5, s9
	s_addc_u32 s9, 0, s25
	s_mul_i32 s25, s0, s9
	s_mul_hi_u32 s28, s0, s5
	s_add_i32 s25, s28, s25
	s_mul_i32 s28, s1, s5
	s_add_i32 s25, s25, s28
	s_sub_i32 s30, s27, s25
	s_mul_i32 s28, s0, s5
	s_sub_u32 s26, s26, s28
	s_cselect_b64 s[28:29], -1, 0
	s_cmp_lg_u64 s[28:29], 0
	s_subb_u32 s33, s30, s1
	s_sub_u32 s34, s26, s0
	s_cselect_b64 s[30:31], -1, 0
	s_cmp_lg_u64 s[30:31], 0
	s_subb_u32 s30, s33, 0
	s_cmp_ge_u32 s30, s1
	s_cselect_b32 s31, -1, 0
	s_cmp_ge_u32 s34, s0
	s_cselect_b32 s33, -1, 0
	s_cmp_eq_u32 s30, s1
	s_cselect_b32 s30, s33, s31
	s_add_u32 s31, s5, 1
	s_addc_u32 s33, s9, 0
	s_add_u32 s34, s5, 2
	s_addc_u32 s35, s9, 0
	s_cmp_lg_u32 s30, 0
	s_cselect_b32 s30, s34, s31
	s_cselect_b32 s31, s35, s33
	s_cmp_lg_u64 s[28:29], 0
	s_subb_u32 s25, s27, s25
	s_cmp_ge_u32 s25, s1
	s_cselect_b32 s27, -1, 0
	s_cmp_ge_u32 s26, s0
	s_cselect_b32 s0, -1, 0
	s_cmp_eq_u32 s25, s1
	s_cselect_b32 s0, s0, s27
	s_cmp_lg_u32 s0, 0
	s_cselect_b32 s1, s31, s9
	s_cselect_b32 s0, s30, s5
	s_xor_b64 s[6:7], s[6:7], 0
	s_xor_b64 s[0:1], s[0:1], s[6:7]
	s_sub_u32 s6, s0, s6
	s_cbranch_execnz .LBB16_11
.LBB16_10:
	s_sub_i32 s0, 0, s22
	v_readfirstlane_b32 s1, v4
	s_mul_i32 s0, s0, s1
	s_mul_hi_u32 s0, s1, s0
	s_add_i32 s1, s1, s0
	s_mul_hi_u32 s0, s8, s1
	s_mul_i32 s5, s0, s22
	s_sub_i32 s5, s8, s5
	s_add_i32 s1, s0, 1
	s_sub_i32 s6, s5, s22
	s_cmp_ge_u32 s5, s22
	s_cselect_b32 s0, s1, s0
	s_cselect_b32 s5, s6, s5
	s_add_i32 s1, s0, 1
	s_cmp_ge_u32 s5, s22
	s_cselect_b32 s6, s1, s0
.LBB16_11:
	s_cmp_lg_u32 s10, s6
	s_mov_b64 s[8:9], -1
                                        ; implicit-def: $sgpr0_sgpr1
                                        ; implicit-def: $vgpr10
                                        ; implicit-def: $vgpr8
                                        ; implicit-def: $vgpr9
                                        ; implicit-def: $sgpr5
                                        ; implicit-def: $sgpr7
	s_cbranch_scc1 .LBB16_14
; %bb.12:
	s_andn2_b64 vcc, exec, s[8:9]
	s_cbranch_vccz .LBB16_17
.LBB16_13:
	s_andn2_b64 vcc, exec, s[0:1]
	s_cbranch_vccnz .LBB16_18
	s_branch .LBB16_22
.LBB16_14:
	s_add_i32 s0, s24, s22
	s_lshl_b32 s0, s0, 4
	s_add_i32 s0, s0, s15
	s_mov_b32 s1, s4
	s_lshl_b64 s[0:1], s[0:1], 3
	s_add_u32 s8, s18, s0
	s_mul_hi_u32 s0, s6, s12
	s_addc_u32 s9, s19, s1
	s_add_i32 s0, s0, s6
	s_lshr_b32 s5, s0, s13
	s_mul_i32 s0, s5, s14
	s_cmp_eq_u32 s0, s6
	s_cselect_b64 s[0:1], -1, 0
	s_cmp_lt_u32 s5, s11
	s_cselect_b64 s[26:27], -1, 0
	s_or_b64 s[26:27], s[26:27], s[0:1]
	s_mov_b64 s[0:1], -1
	s_and_b64 vcc, exec, s[26:27]
	s_mov_b32 s5, s24
	s_mov_b32 s7, s10
	s_cbranch_vccnz .LBB16_16
; %bb.15:
	s_add_i32 s5, s24, -1
	s_mov_b64 s[0:1], 0
	s_mov_b32 s7, s6
.LBB16_16:
	v_lshl_add_u32 v8, s24, 13, v0
	v_ashrrev_i32_e32 v9, 31, v8
	v_lshlrev_b64 v[8:9], 2, v[8:9]
	v_mov_b32_e32 v10, s21
	v_add_co_u32_e32 v8, vcc, s20, v8
	v_addc_co_u32_e32 v9, vcc, v10, v9, vcc
	global_load_dword v10, v[8:9], off
	s_load_dwordx2 s[8:9], s[8:9], 0x0
	v_max_f32_e32 v8, v7, v7
	s_waitcnt lgkmcnt(0)
	v_max_f32_e64 v9, s8, s8
	v_max_f32_e32 v8, v8, v9
	v_sub_f32_e32 v9, v7, v8
	v_sub_f32_e32 v11, s8, v8
	v_mul_f32_e32 v12, 0x3fb8aa3b, v9
	v_mul_f32_e32 v13, 0x3fb8aa3b, v11
	v_fma_f32 v14, v9, s2, -v12
	v_rndne_f32_e32 v15, v12
	v_fma_f32 v16, v11, s2, -v13
	v_rndne_f32_e32 v17, v13
	v_fmac_f32_e32 v14, 0x32a5705f, v9
	v_sub_f32_e32 v12, v12, v15
	v_fmac_f32_e32 v16, 0x32a5705f, v11
	v_sub_f32_e32 v13, v13, v17
	v_add_f32_e32 v12, v12, v14
	v_cvt_i32_f32_e32 v15, v15
	v_add_f32_e32 v13, v13, v16
	v_exp_f32_e32 v12, v12
	v_cvt_i32_f32_e32 v17, v17
	v_exp_f32_e32 v13, v13
	v_cmp_ngt_f32_e32 vcc, s16, v9
	v_ldexp_f32 v12, v12, v15
	v_cndmask_b32_e32 v12, 0, v12, vcc
	v_ldexp_f32 v13, v13, v17
	v_cmp_ngt_f32_e32 vcc, s16, v11
	v_cndmask_b32_e32 v13, 0, v13, vcc
	v_cmp_nlt_f32_e32 vcc, s17, v9
	v_cndmask_b32_e32 v12, v5, v12, vcc
	v_cmp_nlt_f32_e32 vcc, s17, v11
	v_cndmask_b32_e32 v13, v5, v13, vcc
	v_cmp_le_f32_e32 vcc, s23, v9
	v_cndmask_b32_e32 v12, 0, v12, vcc
	v_cmp_le_f32_e32 vcc, s23, v11
	v_cndmask_b32_e32 v11, 0, v13, vcc
	v_mul_f32_e32 v9, s9, v11
	v_fmac_f32_e32 v9, v6, v12
	s_waitcnt vmcnt(0)
	v_mul_f32_e32 v10, v10, v11
	v_fmac_f32_e32 v10, v3, v12
	s_cbranch_execnz .LBB16_13
.LBB16_17:
	s_add_i32 s5, s24, -1
	s_mov_b32 s7, s10
	v_mov_b32_e32 v9, v6
	v_mov_b32_e32 v8, v7
	s_waitcnt vmcnt(0)
	v_mov_b32_e32 v10, v3
	s_cbranch_execz .LBB16_22
.LBB16_18:
	s_mov_b32 s10, s7
	s_mov_b32 s24, s5
	v_mov_b32_e32 v6, v9
	v_mov_b32_e32 v7, v8
	s_waitcnt vmcnt(0)
	v_mov_b32_e32 v3, v10
	s_mul_hi_i32 s5, s24, s3
	s_cmp_lg_u64 s[4:5], 0
	s_mul_i32 s8, s24, s3
	s_cbranch_scc1 .LBB16_9
.LBB16_19:
                                        ; implicit-def: $sgpr6_sgpr7
	s_branch .LBB16_10
.LBB16_20:
                                        ; implicit-def: $sgpr10_sgpr11
	s_load_dwordx4 s[12:15], s[4:5], 0x44
	s_branch .LBB16_2
.LBB16_21:
                                        ; implicit-def: $sgpr18_sgpr19
	s_branch .LBB16_5
.LBB16_22:
	v_div_scale_f32 v0, s[0:1], v9, v9, v10
	s_waitcnt vmcnt(0)
	v_div_scale_f32 v3, vcc, v10, v9, v10
	v_rcp_f32_e32 v4, v0
	v_fma_f32 v5, -v0, v4, 1.0
	v_fmac_f32_e32 v4, v5, v4
	v_mul_f32_e32 v5, v3, v4
	v_fma_f32 v6, -v0, v5, v3
	v_fmac_f32_e32 v5, v6, v4
	v_fma_f32 v0, -v0, v5, v3
	v_div_fmas_f32 v0, v0, v4, v5
	v_div_fixup_f32 v0, v0, v9, v10
	global_store_dword v[1:2], v0, off
.LBB16_23:
	s_endpgm
	.section	.rodata,"a",@progbits
	.p2align	6, 0x0
	.amdhsa_kernel _ZL33flash_attn_stream_k_fixup_generalILi512ELi4ELi4EEvPfPK15HIP_vector_typeIfLj2EEiiiiS1_IjLj3EES5_S5_S5_
		.amdhsa_group_segment_fixed_size 0
		.amdhsa_private_segment_fixed_size 0
		.amdhsa_kernarg_size 336
		.amdhsa_user_sgpr_count 6
		.amdhsa_user_sgpr_private_segment_buffer 1
		.amdhsa_user_sgpr_dispatch_ptr 0
		.amdhsa_user_sgpr_queue_ptr 0
		.amdhsa_user_sgpr_kernarg_segment_ptr 1
		.amdhsa_user_sgpr_dispatch_id 0
		.amdhsa_user_sgpr_flat_scratch_init 0
		.amdhsa_user_sgpr_private_segment_size 0
		.amdhsa_uses_dynamic_stack 0
		.amdhsa_system_sgpr_private_segment_wavefront_offset 0
		.amdhsa_system_sgpr_workgroup_id_x 1
		.amdhsa_system_sgpr_workgroup_id_y 1
		.amdhsa_system_sgpr_workgroup_id_z 1
		.amdhsa_system_sgpr_workgroup_info 0
		.amdhsa_system_vgpr_workitem_id 0
		.amdhsa_next_free_vgpr 18
		.amdhsa_next_free_sgpr 36
		.amdhsa_reserve_vcc 1
		.amdhsa_reserve_flat_scratch 0
		.amdhsa_float_round_mode_32 0
		.amdhsa_float_round_mode_16_64 0
		.amdhsa_float_denorm_mode_32 3
		.amdhsa_float_denorm_mode_16_64 3
		.amdhsa_dx10_clamp 1
		.amdhsa_ieee_mode 1
		.amdhsa_fp16_overflow 0
		.amdhsa_exception_fp_ieee_invalid_op 0
		.amdhsa_exception_fp_denorm_src 0
		.amdhsa_exception_fp_ieee_div_zero 0
		.amdhsa_exception_fp_ieee_overflow 0
		.amdhsa_exception_fp_ieee_underflow 0
		.amdhsa_exception_fp_ieee_inexact 0
		.amdhsa_exception_int_div_zero 0
	.end_amdhsa_kernel
	.section	.text._ZL33flash_attn_stream_k_fixup_generalILi512ELi4ELi4EEvPfPK15HIP_vector_typeIfLj2EEiiiiS1_IjLj3EES5_S5_S5_,"axG",@progbits,_ZL33flash_attn_stream_k_fixup_generalILi512ELi4ELi4EEvPfPK15HIP_vector_typeIfLj2EEiiiiS1_IjLj3EES5_S5_S5_,comdat
.Lfunc_end16:
	.size	_ZL33flash_attn_stream_k_fixup_generalILi512ELi4ELi4EEvPfPK15HIP_vector_typeIfLj2EEiiiiS1_IjLj3EES5_S5_S5_, .Lfunc_end16-_ZL33flash_attn_stream_k_fixup_generalILi512ELi4ELi4EEvPfPK15HIP_vector_typeIfLj2EEiiiiS1_IjLj3EES5_S5_S5_
                                        ; -- End function
	.set _ZL33flash_attn_stream_k_fixup_generalILi512ELi4ELi4EEvPfPK15HIP_vector_typeIfLj2EEiiiiS1_IjLj3EES5_S5_S5_.num_vgpr, 18
	.set _ZL33flash_attn_stream_k_fixup_generalILi512ELi4ELi4EEvPfPK15HIP_vector_typeIfLj2EEiiiiS1_IjLj3EES5_S5_S5_.num_agpr, 0
	.set _ZL33flash_attn_stream_k_fixup_generalILi512ELi4ELi4EEvPfPK15HIP_vector_typeIfLj2EEiiiiS1_IjLj3EES5_S5_S5_.numbered_sgpr, 36
	.set _ZL33flash_attn_stream_k_fixup_generalILi512ELi4ELi4EEvPfPK15HIP_vector_typeIfLj2EEiiiiS1_IjLj3EES5_S5_S5_.num_named_barrier, 0
	.set _ZL33flash_attn_stream_k_fixup_generalILi512ELi4ELi4EEvPfPK15HIP_vector_typeIfLj2EEiiiiS1_IjLj3EES5_S5_S5_.private_seg_size, 0
	.set _ZL33flash_attn_stream_k_fixup_generalILi512ELi4ELi4EEvPfPK15HIP_vector_typeIfLj2EEiiiiS1_IjLj3EES5_S5_S5_.uses_vcc, 1
	.set _ZL33flash_attn_stream_k_fixup_generalILi512ELi4ELi4EEvPfPK15HIP_vector_typeIfLj2EEiiiiS1_IjLj3EES5_S5_S5_.uses_flat_scratch, 0
	.set _ZL33flash_attn_stream_k_fixup_generalILi512ELi4ELi4EEvPfPK15HIP_vector_typeIfLj2EEiiiiS1_IjLj3EES5_S5_S5_.has_dyn_sized_stack, 0
	.set _ZL33flash_attn_stream_k_fixup_generalILi512ELi4ELi4EEvPfPK15HIP_vector_typeIfLj2EEiiiiS1_IjLj3EES5_S5_S5_.has_recursion, 0
	.set _ZL33flash_attn_stream_k_fixup_generalILi512ELi4ELi4EEvPfPK15HIP_vector_typeIfLj2EEiiiiS1_IjLj3EES5_S5_S5_.has_indirect_call, 0
	.section	.AMDGPU.csdata,"",@progbits
; Kernel info:
; codeLenInByte = 2940
; TotalNumSgprs: 40
; NumVgprs: 18
; ScratchSize: 0
; MemoryBound: 0
; FloatMode: 240
; IeeeMode: 1
; LDSByteSize: 0 bytes/workgroup (compile time only)
; SGPRBlocks: 4
; VGPRBlocks: 4
; NumSGPRsForWavesPerEU: 40
; NumVGPRsForWavesPerEU: 18
; Occupancy: 10
; WaveLimiterHint : 0
; COMPUTE_PGM_RSRC2:SCRATCH_EN: 0
; COMPUTE_PGM_RSRC2:USER_SGPR: 6
; COMPUTE_PGM_RSRC2:TRAP_HANDLER: 0
; COMPUTE_PGM_RSRC2:TGID_X_EN: 1
; COMPUTE_PGM_RSRC2:TGID_Y_EN: 1
; COMPUTE_PGM_RSRC2:TGID_Z_EN: 1
; COMPUTE_PGM_RSRC2:TIDIG_COMP_CNT: 0
	.section	.text._ZL15flash_attn_tileILi576ELi512ELi2ELi4ELb0EEvPKcS1_S1_S1_S1_PKiPfP15HIP_vector_typeIfLj2EEffffjfiS5_IjLj3EEiiiiiiiiiiiliiliiiiil,"axG",@progbits,_ZL15flash_attn_tileILi576ELi512ELi2ELi4ELb0EEvPKcS1_S1_S1_S1_PKiPfP15HIP_vector_typeIfLj2EEffffjfiS5_IjLj3EEiiiiiiiiiiiliiliiiiil,comdat
	.globl	_ZL15flash_attn_tileILi576ELi512ELi2ELi4ELb0EEvPKcS1_S1_S1_S1_PKiPfP15HIP_vector_typeIfLj2EEffffjfiS5_IjLj3EEiiiiiiiiiiiliiliiiiil ; -- Begin function _ZL15flash_attn_tileILi576ELi512ELi2ELi4ELb0EEvPKcS1_S1_S1_S1_PKiPfP15HIP_vector_typeIfLj2EEffffjfiS5_IjLj3EEiiiiiiiiiiiliiliiiiil
	.p2align	8
	.type	_ZL15flash_attn_tileILi576ELi512ELi2ELi4ELb0EEvPKcS1_S1_S1_S1_PKiPfP15HIP_vector_typeIfLj2EEffffjfiS5_IjLj3EEiiiiiiiiiiiliiliiiiil,@function
_ZL15flash_attn_tileILi576ELi512ELi2ELi4ELb0EEvPKcS1_S1_S1_S1_PKiPfP15HIP_vector_typeIfLj2EEffffjfiS5_IjLj3EEiiiiiiiiiiiliiliiiiil: ; @_ZL15flash_attn_tileILi576ELi512ELi2ELi4ELb0EEvPKcS1_S1_S1_S1_PKiPfP15HIP_vector_typeIfLj2EEffffjfiS5_IjLj3EEiiiiiiiiiiiliiliiiiil
; %bb.0:
	s_load_dwordx4 s[24:27], s[4:5], 0x5c
	s_load_dwordx2 s[28:29], s[4:5], 0x80
	s_load_dwordx2 s[34:35], s[4:5], 0xb8
	s_mov_b64 s[30:31], 0
	s_waitcnt lgkmcnt(0)
	s_ashr_i32 s0, s27, 31
	s_lshr_b32 s0, s0, 30
	s_add_i32 s0, s27, s0
	s_ashr_i32 s0, s0, 2
	v_cvt_f32_u32_e32 v2, s0
	s_sub_i32 s1, 0, s0
	v_rcp_iflag_f32_e32 v2, v2
	v_mul_f32_e32 v2, 0x4f7ffffe, v2
	v_cvt_u32_f32_e32 v2, v2
	v_readfirstlane_b32 s2, v2
	s_mul_i32 s1, s1, s2
	s_mul_hi_u32 s1, s2, s1
	s_add_i32 s2, s2, s1
	s_mul_hi_u32 s1, s8, s2
	s_mul_i32 s2, s1, s0
	s_sub_i32 s2, s8, s2
	s_add_i32 s3, s1, 1
	s_sub_i32 s9, s2, s0
	s_cmp_ge_u32 s2, s0
	s_cselect_b32 s1, s3, s1
	s_cselect_b32 s2, s9, s2
	s_add_i32 s3, s1, 1
	s_cmp_ge_u32 s2, s0
	s_cselect_b32 s33, s3, s1
	s_abs_i32 s0, s29
	v_cvt_f32_u32_e32 v2, s0
	s_lshl_b32 s1, s8, 2
	s_mul_i32 s8, s33, s27
	s_xor_b32 s2, s27, s29
	v_rcp_iflag_f32_e32 v2, v2
	s_sub_i32 s9, 0, s0
	s_sub_i32 s29, s1, s8
	s_abs_i32 s3, s27
	v_mul_f32_e32 v2, 0x4f7ffffe, v2
	v_cvt_u32_f32_e32 v2, v2
	s_ashr_i32 s2, s2, 31
	v_readfirstlane_b32 s1, v2
	s_mul_i32 s9, s9, s1
	s_mul_hi_u32 s8, s1, s9
	s_add_i32 s1, s1, s8
	s_mul_hi_u32 s1, s3, s1
	s_mul_i32 s8, s1, s0
	s_sub_i32 s3, s3, s8
	s_add_i32 s9, s1, 1
	s_sub_i32 s8, s3, s0
	s_cmp_ge_u32 s3, s0
	s_cselect_b32 s1, s9, s1
	s_cselect_b32 s3, s8, s3
	s_add_i32 s8, s1, 1
	s_cmp_ge_u32 s3, s0
	s_cselect_b32 s0, s8, s1
	s_xor_b32 s0, s0, s2
	s_sub_i32 s37, s0, s2
	s_abs_i32 s36, s37
	v_cvt_f32_u32_e32 v2, s36
	s_load_dwordx16 s[8:23], s[4:5], 0x0
	v_rcp_iflag_f32_e32 v2, v2
	s_waitcnt lgkmcnt(0)
	s_cmp_eq_u64 s[14:15], 0
	v_mul_f32_e32 v2, 0x4f7ffffe, v2
	v_cvt_u32_f32_e32 v2, v2
	v_readfirstlane_b32 s38, v2
	s_cbranch_scc1 .LBB17_2
; %bb.1:
	s_abs_i32 s2, s34
	v_cvt_f32_u32_e32 v2, s2
	s_sub_i32 s31, 0, s2
	s_abs_i32 s30, s33
	s_ashr_i32 s3, s33, 31
	v_rcp_iflag_f32_e32 v2, v2
	s_load_dwordx2 s[0:1], s[4:5], 0xc8
	v_mul_f32_e32 v2, 0x4f7ffffe, v2
	v_cvt_u32_f32_e32 v2, v2
	v_readfirstlane_b32 s34, v2
	s_mul_i32 s31, s31, s34
	s_mul_hi_u32 s31, s34, s31
	s_add_i32 s34, s34, s31
	s_mul_hi_u32 s31, s30, s34
	s_mul_i32 s31, s31, s2
	s_sub_i32 s30, s30, s31
	s_sub_i32 s31, s30, s2
	s_cmp_ge_u32 s30, s2
	s_cselect_b32 s30, s31, s30
	s_sub_i32 s31, s30, s2
	s_cmp_ge_u32 s30, s2
	s_cselect_b32 s2, s31, s30
	s_xor_b32 s2, s2, s3
	s_sub_i32 s2, s2, s3
	s_ashr_i32 s3, s2, 31
	s_waitcnt lgkmcnt(0)
	s_mul_hi_u32 s30, s0, s2
	s_mul_i32 s3, s0, s3
	s_mul_i32 s1, s1, s2
	s_add_i32 s3, s30, s3
	s_add_i32 s3, s3, s1
	s_mul_i32 s0, s0, s2
	s_add_u32 s30, s14, s0
	s_addc_u32 s31, s15, s3
.LBB17_2:
	s_load_dwordx4 s[0:3], s[4:5], 0x70
	v_lshrrev_b32_e32 v2, 2, v1
	v_lshl_add_u32 v30, s6, 1, v2
	v_mul_hi_u32 v4, s24, v30
	v_and_b32_e32 v29, 3, v1
	s_waitcnt lgkmcnt(0)
	s_mul_i32 s2, s33, s2
	s_ashr_i32 s14, s2, 31
	s_mul_i32 s3, s29, s1
	s_add_u32 s2, s8, s2
	v_add_u32_e32 v4, v30, v4
	s_addc_u32 s8, s9, s14
	s_ashr_i32 s9, s3, 31
	v_lshrrev_b32_e32 v4, s25, v4
	s_add_u32 s14, s2, s3
	v_mul_lo_u32 v4, v4, s26
	s_addc_u32 s15, s8, s9
	s_ashr_i32 s3, s1, 31
	s_mov_b32 s2, s1
	s_lshr_b64 s[8:9], s[2:3], 2
	v_mad_u64_u32 v[2:3], s[8:9], s8, v29, 0
	s_ashr_i32 s1, s0, 31
	v_sub_u32_e32 v4, v30, v4
	s_lshr_b64 s[8:9], s[0:1], 2
	v_mad_u64_u32 v[5:6], s[8:9], s8, v4, 0
	s_lshr_b32 s0, s3, 2
	v_mad_u64_u32 v[7:8], s[2:3], s0, v29, v[3:4]
	v_mov_b32_e32 v3, v6
	s_lshr_b32 s0, s1, 2
	v_mad_u64_u32 v[8:9], s[0:1], s0, v4, v[3:4]
	v_mov_b32_e32 v3, v7
	v_lshlrev_b64 v[2:3], 2, v[2:3]
	v_mov_b32_e32 v6, v8
	v_mov_b32_e32 v7, s15
	v_add_co_u32_e32 v8, vcc, s14, v2
	v_addc_co_u32_e32 v7, vcc, v7, v3, vcc
	v_lshlrev_b64 v[2:3], 2, v[5:6]
	v_lshlrev_b32_e32 v5, 4, v0
	v_add_co_u32_e32 v2, vcc, v8, v2
	v_addc_co_u32_e32 v3, vcc, v7, v3, vcc
	v_add_co_u32_e32 v2, vcc, v2, v5
	v_addc_co_u32_e32 v3, vcc, 0, v3, vcc
	global_load_dwordx4 v[6:9], v[2:3], off
	global_load_dwordx4 v[10:13], v[2:3], off offset:512
	global_load_dwordx4 v[14:17], v[2:3], off offset:1024
	;; [unrolled: 1-line block ×3, first 2 shown]
	s_load_dword s2, s[4:5], 0x40
	s_movk_i32 s0, 0x480
	v_lshlrev_b32_e32 v5, 3, v0
	v_mul_u32_u24_e32 v32, 0x480, v1
	v_mad_u32_u24 v22, v1, s0, v5
	v_cmp_gt_u32_e32 vcc, 16, v0
	s_waitcnt vmcnt(3) lgkmcnt(0)
	v_fma_mixlo_f16 v6, s2, v6, 0
	v_fma_mixlo_f16 v7, s2, v7, 0
	;; [unrolled: 1-line block ×4, first 2 shown]
	s_waitcnt vmcnt(2)
	v_fma_mixlo_f16 v10, s2, v10, 0
	v_fma_mixlo_f16 v11, s2, v11, 0
	;; [unrolled: 1-line block ×4, first 2 shown]
	s_waitcnt vmcnt(1)
	v_fma_mixlo_f16 v14, s2, v14, 0
	v_fma_mixlo_f16 v15, s2, v15, 0
	s_waitcnt vmcnt(0)
	v_fma_mixlo_f16 v18, s2, v18, 0
	v_fma_mixlo_f16 v19, s2, v19, 0
	v_lshlrev_b32_e32 v7, 16, v7
	v_and_b32_e32 v6, 0xffff, v6
	v_lshlrev_b32_e32 v9, 16, v9
	v_and_b32_e32 v8, 0xffff, v8
	v_lshlrev_b32_e32 v11, 16, v11
	v_and_b32_e32 v10, 0xffff, v10
	v_fma_mixlo_f16 v16, s2, v16, 0
	v_fma_mixlo_f16 v17, s2, v17, 0
	;; [unrolled: 1-line block ×4, first 2 shown]
	v_lshlrev_b32_e32 v13, 16, v13
	v_and_b32_e32 v12, 0xffff, v12
	v_lshlrev_b32_e32 v15, 16, v15
	v_and_b32_e32 v14, 0xffff, v14
	v_lshlrev_b32_e32 v19, 16, v19
	v_and_b32_e32 v18, 0xffff, v18
	v_or_b32_e32 v6, v7, v6
	v_or3_b32 v7, v9, v8, 0
	v_or_b32_e32 v8, v11, v10
	v_lshlrev_b32_e32 v17, 16, v17
	v_and_b32_e32 v16, 0xffff, v16
	v_lshlrev_b32_e32 v21, 16, v21
	v_and_b32_e32 v20, 0xffff, v20
	v_or3_b32 v9, v13, v12, 0
	v_or_b32_e32 v10, v15, v14
	v_or_b32_e32 v12, v19, v18
	v_or3_b32 v6, 0, 0, v6
	v_or3_b32 v8, 0, 0, v8
	;; [unrolled: 1-line block ×6, first 2 shown]
	ds_write2_b64 v22, v[6:7], v[8:9] offset1:32
	ds_write2_b64 v22, v[10:11], v[12:13] offset0:64 offset1:96
	s_and_saveexec_b64 s[0:1], vcc
	s_cbranch_execz .LBB17_4
; %bb.3:
	global_load_dwordx4 v[6:9], v[2:3], off offset:2048
	s_waitcnt vmcnt(0)
	v_fma_mixlo_f16 v2, s2, v6, 0
	v_fma_mixlo_f16 v3, s2, v7, 0
	v_fma_mixlo_f16 v6, s2, v8, 0
	v_fma_mixlo_f16 v7, s2, v9, 0
	v_lshlrev_b32_e32 v3, 16, v3
	v_and_b32_e32 v2, 0xffff, v2
	v_lshlrev_b32_e32 v7, 16, v7
	v_and_b32_e32 v6, 0xffff, v6
	v_or_b32_e32 v2, v3, v2
	v_or3_b32 v3, v7, v6, 0
	v_or3_b32 v2, 0, 0, v2
	v_add_u32_e32 v6, v32, v5
	ds_write_b64 v6, v[2:3] offset:1024
.LBB17_4:
	s_or_b64 exec, exec, s[0:1]
	s_cmp_eq_u64 s[18:19], 0
	s_waitcnt lgkmcnt(0)
	s_barrier
	s_cbranch_scc1 .LBB17_6
; %bb.5:
	s_load_dword s0, s[4:5], 0xd0
	s_mov_b32 s1, 0
	s_waitcnt lgkmcnt(0)
	s_mul_i32 s0, s0, s33
	s_add_i32 s0, s0, s6
	s_lshl_b64 s[0:1], s[0:1], 2
	s_add_u32 s0, s18, s0
	s_addc_u32 s1, s19, s1
	s_load_dword s28, s[0:1], 0x0
.LBB17_6:
	s_lshl_b32 s6, s7, 6
	v_lshlrev_b32_e32 v31, 2, v0
	s_waitcnt lgkmcnt(0)
	s_cmp_lt_i32 s6, s28
	v_mbcnt_lo_u32_b32 v7, -1, 0
	s_cbranch_scc1 .LBB17_9
; %bb.7:
	v_mbcnt_hi_u32_b32 v33, -1, v7
	v_and_b32_e32 v2, 0x60, v33
	v_add_u32_e32 v34, 32, v2
	v_xor_b32_e32 v39, 16, v33
	v_xor_b32_e32 v38, 8, v33
	;; [unrolled: 1-line block ×5, first 2 shown]
	s_cbranch_execz .LBB17_10
; %bb.8:
	v_mov_b32_e32 v62, 0
	v_mov_b32_e32 v13, 0
	;; [unrolled: 1-line block ×10, first 2 shown]
	s_branch .LBB17_12
.LBB17_9:
                                        ; implicit-def: $vgpr33
                                        ; implicit-def: $vgpr34
                                        ; implicit-def: $vgpr39
                                        ; implicit-def: $vgpr38
                                        ; implicit-def: $vgpr37
                                        ; implicit-def: $vgpr36
                                        ; implicit-def: $vgpr35
.LBB17_10:
	s_sub_i32 s0, 0, s36
	s_mul_i32 s0, s0, s38
	s_mul_hi_u32 s0, s38, s0
	s_add_i32 s38, s38, s0
	s_load_dwordx2 s[8:9], s[4:5], 0x8c
	s_load_dwordx4 s[0:3], s[4:5], 0x98
	s_abs_i32 s18, s29
	s_mul_hi_u32 s19, s18, s38
	s_ashr_i32 s34, s29, 31
	s_waitcnt lgkmcnt(0)
	s_ashr_i32 s25, s8, 2
	s_ashr_i32 s8, s33, 31
	;; [unrolled: 1-line block ×4, first 2 shown]
	s_mul_hi_u32 s35, s0, s33
	s_mul_i32 s38, s0, s8
	s_add_i32 s35, s35, s38
	s_mul_i32 s1, s1, s33
	s_ashr_i32 s37, s37, 31
	s_add_i32 s35, s35, s1
	s_mul_i32 s0, s0, s33
	s_add_u32 s0, s10, s0
	s_addc_u32 s1, s11, s35
	s_mul_i32 s11, s19, s36
	s_sub_i32 s11, s18, s11
	s_xor_b32 s10, s34, s37
	s_add_i32 s18, s19, 1
	s_sub_i32 s34, s11, s36
	s_cmp_ge_u32 s11, s36
	s_cselect_b32 s18, s18, s19
	s_cselect_b32 s11, s34, s11
	s_add_i32 s19, s18, 1
	s_cmp_ge_u32 s11, s36
	s_cselect_b32 s11, s19, s18
	s_load_dwordx2 s[14:15], s[4:5], 0xa8
	s_xor_b32 s11, s11, s10
	s_sub_i32 s10, s11, s10
	s_mul_i32 s9, s10, s9
	s_ashr_i32 s11, s9, 31
	s_add_u32 s34, s0, s9
	s_addc_u32 s35, s1, s11
	s_waitcnt lgkmcnt(0)
	s_mul_hi_u32 s0, s14, s33
	s_mul_i32 s1, s14, s8
	s_add_i32 s0, s0, s1
	s_mul_i32 s1, s15, s33
	s_add_i32 s0, s0, s1
	s_mul_i32 s1, s14, s33
	s_add_u32 s1, s12, s1
	s_mul_i32 s10, s10, s3
	s_addc_u32 s0, s13, s0
	s_ashr_i32 s3, s10, 31
	s_add_u32 s8, s1, s10
	v_lshrrev_b32_e32 v2, 3, v0
	v_and_b32_e32 v6, 28, v31
	s_addc_u32 s3, s0, s3
	v_lshl_add_u32 v2, v1, 2, v2
	v_lshlrev_b32_e32 v3, 2, v6
	s_movk_i32 s0, 0x90
	v_mul_lo_u32 v8, s25, v2
	v_mad_u32_u24 v2, v2, s0, v3
	v_add_u32_e32 v40, 0x2400, v2
	v_add_u32_e32 v41, 0x3600, v2
	v_mov_b32_e32 v2, 0x2400
	v_mad_u32_u24 v42, v0, s0, v2
	v_mad_u64_u32 v[2:3], s[0:1], v4, s2, v[0:1]
	v_mov_b32_e32 v3, 0x4800
	v_lshl_add_u32 v43, v1, 7, v3
	v_mul_lo_u32 v3, s24, v1
	v_mov_b32_e32 v13, s3
	v_lshl_add_u32 v10, s25, 5, v8
	v_lshlrev_b32_e32 v12, 2, v31
	v_ashrrev_i32_e32 v4, 31, v3
	v_lshlrev_b64 v[3:4], 2, v[3:4]
	v_ashrrev_i32_e32 v9, 31, v8
	v_add_co_u32_e32 v3, vcc, s8, v3
	v_addc_co_u32_e32 v4, vcc, v13, v4, vcc
	v_ashrrev_i32_e32 v11, 31, v10
	v_add_co_u32_e32 v48, vcc, v3, v12
	v_mbcnt_hi_u32_b32 v33, -1, v7
	v_lshl_add_u32 v1, v1, 10, v12
	v_add_u32_e32 v47, 0x2400, v5
	s_add_u32 s12, s4, 0xd0
	v_addc_co_u32_e32 v49, vcc, 0, v4, vcc
	v_lshlrev_b64 v[3:4], 2, v[8:9]
	v_lshlrev_b32_e32 v50, 2, v6
	v_lshlrev_b64 v[5:6], 2, v[10:11]
	v_and_b32_e32 v7, 0x60, v33
	v_mov_b32_e32 v56, 0
	v_lshl_add_u32 v44, v0, 1, v43
	v_add_u32_e32 v45, 0x2400, v1
	v_add_u32_e32 v46, 0x2600, v1
	s_addc_u32 s13, s5, 0
	v_mov_b32_e32 v1, 0xfeffffff
	v_add_u32_e32 v34, 32, v7
	v_xor_b32_e32 v39, 16, v33
	v_xor_b32_e32 v38, 8, v33
	;; [unrolled: 1-line block ×5, first 2 shown]
	v_mov_b32_e32 v51, s31
	s_mov_b32 s31, 0x3fb8aa3b
	s_mov_b32 s36, 0xc2ce8ed0
	;; [unrolled: 1-line block ×3, first 2 shown]
	v_mov_b32_e32 v52, 0x7f800000
	s_mov_b32 s38, 0x10001
	v_add_u32_e32 v53, 0x800, v47
	v_add_u32_e32 v54, 0x1000, v47
	;; [unrolled: 1-line block ×3, first 2 shown]
	v_mov_b32_e32 v57, 0
	v_mov_b32_e32 v59, 0
	;; [unrolled: 1-line block ×8, first 2 shown]
.LBB17_11:                              ; =>This Inner Loop Header: Depth=1
	s_mul_hi_i32 s1, s6, s25
	s_mul_i32 s0, s6, s25
	v_add_u32_e32 v7, s6, v2
	v_cmp_lt_i32_e32 vcc, v39, v34
	s_lshl_b64 s[0:1], s[0:1], 2
	v_ashrrev_i32_e32 v8, 31, v7
	v_cndmask_b32_e32 v9, v33, v39, vcc
	v_cmp_lt_i32_e32 vcc, v38, v34
	s_add_u32 s8, s34, s0
	v_lshlrev_b64 v[7:8], 1, v[7:8]
	v_cndmask_b32_e32 v10, v33, v38, vcc
	v_cmp_lt_i32_e32 vcc, v37, v34
	s_addc_u32 s0, s35, s1
	v_cndmask_b32_e32 v11, v33, v37, vcc
	v_cmp_lt_i32_e32 vcc, v36, v34
	s_mul_hi_i32 s3, s6, s24
	s_mul_i32 s2, s6, s24
	v_lshlrev_b32_e32 v71, 2, v9
	v_lshlrev_b32_e32 v70, 2, v10
	v_mov_b32_e32 v9, s0
	v_mov_b32_e32 v10, s0
	v_add_co_u32_e64 v15, s[0:1], s30, v7
	v_cndmask_b32_e32 v12, v33, v36, vcc
	v_cmp_lt_i32_e32 vcc, v35, v34
	s_lshl_b64 s[2:3], s[2:3], 2
	v_addc_co_u32_e64 v16, s[0:1], v51, v8, s[0:1]
	v_cndmask_b32_e32 v14, v33, v35, vcc
	v_mov_b32_e32 v66, v13
	v_mov_b32_e32 v7, s3
	v_add_co_u32_e64 v13, s[0:1], s2, v48
	v_lshlrev_b32_e32 v69, 2, v11
	v_lshlrev_b32_e32 v67, 2, v14
	v_add_co_u32_e32 v11, vcc, s8, v5
	v_add_co_u32_e64 v8, s[2:3], s8, v3
	v_addc_co_u32_e64 v14, s[0:1], v49, v7, s[0:1]
	v_addc_co_u32_e64 v9, s[2:3], v9, v4, s[2:3]
	v_addc_co_u32_e32 v10, vcc, v10, v6, vcc
	v_add_co_u32_e64 v21, s[0:1], v8, v50
	v_add_co_u32_e32 v19, vcc, v11, v50
	v_addc_co_u32_e64 v22, s[0:1], 0, v9, s[0:1]
	v_addc_co_u32_e32 v20, vcc, 0, v10, vcc
	global_load_dwordx4 v[25:28], v[21:22], off
	global_load_dwordx4 v[74:77], v[19:20], off
	v_mov_b32_e32 v64, v1
	v_mov_b32_e32 v1, 0
	;; [unrolled: 1-line block ×3, first 2 shown]
	s_or_b32 s10, s6, 16
	s_mul_hi_i32 s41, s10, s24
	s_mul_i32 s40, s10, s24
	s_or_b32 s9, s6, 8
	s_or_b32 s11, s6, 24
	;; [unrolled: 1-line block ×3, first 2 shown]
	s_lshl_b64 s[2:3], s[40:41], 2
	s_mul_hi_i32 s19, s9, s24
	s_mul_i32 s18, s9, s24
	s_mul_hi_i32 s43, s11, s24
	s_mul_i32 s42, s11, s24
	;; [unrolled: 2-line block ×3, first 2 shown]
	v_mov_b32_e32 v10, s3
	v_add_co_u32_e32 v11, vcc, s2, v48
	v_lshlrev_b32_e32 v68, 2, v12
	s_or_b32 s15, s6, 40
	s_or_b32 s39, s6, 48
	s_or_b32 s50, s6, 56
	s_lshl_b64 s[10:11], s[18:19], 2
	s_lshl_b64 s[18:19], s[42:43], 2
	;; [unrolled: 1-line block ×3, first 2 shown]
	v_addc_co_u32_e32 v12, vcc, v49, v10, vcc
	s_mul_hi_i32 s47, s15, s24
	s_mul_i32 s46, s15, s24
	s_mul_hi_i32 s49, s39, s24
	s_mul_i32 s48, s39, s24
	;; [unrolled: 2-line block ×3, first 2 shown]
	v_mov_b32_e32 v18, s19
	v_mov_b32_e32 v23, s41
	s_waitcnt vmcnt(1)
	ds_write_b128 v40, v[25:28]
	s_waitcnt vmcnt(0)
	ds_write_b128 v41, v[74:77]
	s_waitcnt lgkmcnt(0)
	s_barrier
	ds_read_b128 v[25:28], v42
	ds_read_b128 v[74:77], v32
	ds_read_b128 v[78:81], v42 offset:4608
	s_waitcnt lgkmcnt(1)
	;;#ASMSTART
	v_dot2_f32_f16 v1, v25, v74, v1
	;;#ASMEND
	;;#ASMSTART
	v_dot2_f32_f16 v1, v26, v75, v1
	;;#ASMEND
	;;#ASMSTART
	v_dot2_f32_f16 v1, v27, v76, v1
	;;#ASMEND
	;;#ASMSTART
	v_dot2_f32_f16 v1, v28, v77, v1
	;;#ASMEND
	s_waitcnt lgkmcnt(0)
	;;#ASMSTART
	v_dot2_f32_f16 v65, v78, v74, v65
	;;#ASMEND
	;;#ASMSTART
	v_dot2_f32_f16 v65, v79, v75, v65
	;;#ASMEND
	;;#ASMSTART
	v_dot2_f32_f16 v65, v80, v76, v65
	;;#ASMEND
	;;#ASMSTART
	v_dot2_f32_f16 v65, v81, v77, v65
	;;#ASMEND
	ds_read_b128 v[25:28], v42 offset:16
	ds_read_b128 v[74:77], v32 offset:16
	ds_read_b128 v[78:81], v42 offset:4624
	s_waitcnt lgkmcnt(1)
	;;#ASMSTART
	v_dot2_f32_f16 v1, v25, v74, v1
	;;#ASMEND
	;;#ASMSTART
	v_dot2_f32_f16 v1, v26, v75, v1
	;;#ASMEND
	;;#ASMSTART
	v_dot2_f32_f16 v1, v27, v76, v1
	;;#ASMEND
	;;#ASMSTART
	v_dot2_f32_f16 v1, v28, v77, v1
	;;#ASMEND
	s_waitcnt lgkmcnt(0)
	;;#ASMSTART
	v_dot2_f32_f16 v65, v78, v74, v65
	;;#ASMEND
	;;#ASMSTART
	v_dot2_f32_f16 v65, v79, v75, v65
	;;#ASMEND
	;;#ASMSTART
	v_dot2_f32_f16 v65, v80, v76, v65
	;;#ASMEND
	;;#ASMSTART
	v_dot2_f32_f16 v65, v81, v77, v65
	;;#ASMEND
	ds_read_b128 v[25:28], v42 offset:32
	ds_read_b128 v[74:77], v32 offset:32
	;; [unrolled: 29-line block ×7, first 2 shown]
	ds_read_b128 v[78:81], v42 offset:4720
	s_waitcnt lgkmcnt(1)
	;;#ASMSTART
	v_dot2_f32_f16 v1, v25, v74, v1
	;;#ASMEND
	;;#ASMSTART
	v_dot2_f32_f16 v1, v26, v75, v1
	;;#ASMEND
	;; [unrolled: 3-line block ×4, first 2 shown]
	s_waitcnt lgkmcnt(0)
	;;#ASMSTART
	v_dot2_f32_f16 v65, v78, v74, v65
	;;#ASMEND
	;;#ASMSTART
	v_dot2_f32_f16 v65, v79, v75, v65
	;;#ASMEND
	;; [unrolled: 3-line block ×4, first 2 shown]
	s_barrier
	global_load_dwordx4 v[25:28], v[21:22], off offset:128
	global_load_dwordx4 v[74:77], v[19:20], off offset:128
	v_add_co_u32_e64 v9, s[0:1], s40, v48
	s_lshl_b64 s[14:15], s[46:47], 2
	s_lshl_b64 s[42:43], s[48:49], 2
	;; [unrolled: 1-line block ×3, first 2 shown]
	v_mov_b32_e32 v8, s11
	v_mov_b32_e32 v24, s15
	;; [unrolled: 1-line block ×3, first 2 shown]
	v_add_co_u32_e64 v7, s[2:3], s42, v48
	v_mov_b32_e32 v73, s9
	v_add_co_u32_e64 v17, s[8:9], s8, v48
	s_waitcnt vmcnt(1)
	ds_write_b128 v40, v[25:28]
	s_waitcnt vmcnt(0)
	ds_write_b128 v41, v[74:77]
	s_waitcnt lgkmcnt(0)
	s_barrier
	ds_read_b128 v[25:28], v42
	ds_read_b128 v[74:77], v32 offset:128
	ds_read_b128 v[78:81], v42 offset:4608
	s_waitcnt lgkmcnt(1)
	;;#ASMSTART
	v_dot2_f32_f16 v1, v25, v74, v1
	;;#ASMEND
	;;#ASMSTART
	v_dot2_f32_f16 v1, v26, v75, v1
	;;#ASMEND
	;;#ASMSTART
	v_dot2_f32_f16 v1, v27, v76, v1
	;;#ASMEND
	;;#ASMSTART
	v_dot2_f32_f16 v1, v28, v77, v1
	;;#ASMEND
	s_waitcnt lgkmcnt(0)
	;;#ASMSTART
	v_dot2_f32_f16 v65, v78, v74, v65
	;;#ASMEND
	;;#ASMSTART
	v_dot2_f32_f16 v65, v79, v75, v65
	;;#ASMEND
	;;#ASMSTART
	v_dot2_f32_f16 v65, v80, v76, v65
	;;#ASMEND
	;;#ASMSTART
	v_dot2_f32_f16 v65, v81, v77, v65
	;;#ASMEND
	ds_read_b128 v[25:28], v42 offset:16
	ds_read_b128 v[74:77], v32 offset:144
	ds_read_b128 v[78:81], v42 offset:4624
	s_waitcnt lgkmcnt(1)
	;;#ASMSTART
	v_dot2_f32_f16 v1, v25, v74, v1
	;;#ASMEND
	;;#ASMSTART
	v_dot2_f32_f16 v1, v26, v75, v1
	;;#ASMEND
	;;#ASMSTART
	v_dot2_f32_f16 v1, v27, v76, v1
	;;#ASMEND
	;;#ASMSTART
	v_dot2_f32_f16 v1, v28, v77, v1
	;;#ASMEND
	s_waitcnt lgkmcnt(0)
	;;#ASMSTART
	v_dot2_f32_f16 v65, v78, v74, v65
	;;#ASMEND
	;;#ASMSTART
	v_dot2_f32_f16 v65, v79, v75, v65
	;;#ASMEND
	;;#ASMSTART
	v_dot2_f32_f16 v65, v80, v76, v65
	;;#ASMEND
	;;#ASMSTART
	v_dot2_f32_f16 v65, v81, v77, v65
	;;#ASMEND
	ds_read_b128 v[25:28], v42 offset:32
	;; [unrolled: 29-line block ×7, first 2 shown]
	ds_read_b128 v[74:77], v32 offset:240
	ds_read_b128 v[78:81], v42 offset:4720
	s_waitcnt lgkmcnt(1)
	;;#ASMSTART
	v_dot2_f32_f16 v1, v25, v74, v1
	;;#ASMEND
	;;#ASMSTART
	v_dot2_f32_f16 v1, v26, v75, v1
	;;#ASMEND
	;; [unrolled: 3-line block ×4, first 2 shown]
	s_waitcnt lgkmcnt(0)
	;;#ASMSTART
	v_dot2_f32_f16 v65, v78, v74, v65
	;;#ASMEND
	;;#ASMSTART
	v_dot2_f32_f16 v65, v79, v75, v65
	;;#ASMEND
	;; [unrolled: 3-line block ×4, first 2 shown]
	s_barrier
	global_load_dwordx4 v[25:28], v[21:22], off offset:256
	global_load_dwordx4 v[74:77], v[19:20], off offset:256
	s_waitcnt vmcnt(1)
	ds_write_b128 v40, v[25:28]
	s_waitcnt vmcnt(0)
	ds_write_b128 v41, v[74:77]
	s_waitcnt lgkmcnt(0)
	s_barrier
	ds_read_b128 v[25:28], v42
	ds_read_b128 v[74:77], v32 offset:256
	ds_read_b128 v[78:81], v42 offset:4608
	s_waitcnt lgkmcnt(1)
	;;#ASMSTART
	v_dot2_f32_f16 v1, v25, v74, v1
	;;#ASMEND
	;;#ASMSTART
	v_dot2_f32_f16 v1, v26, v75, v1
	;;#ASMEND
	;;#ASMSTART
	v_dot2_f32_f16 v1, v27, v76, v1
	;;#ASMEND
	;;#ASMSTART
	v_dot2_f32_f16 v1, v28, v77, v1
	;;#ASMEND
	s_waitcnt lgkmcnt(0)
	;;#ASMSTART
	v_dot2_f32_f16 v65, v78, v74, v65
	;;#ASMEND
	;;#ASMSTART
	v_dot2_f32_f16 v65, v79, v75, v65
	;;#ASMEND
	;;#ASMSTART
	v_dot2_f32_f16 v65, v80, v76, v65
	;;#ASMEND
	;;#ASMSTART
	v_dot2_f32_f16 v65, v81, v77, v65
	;;#ASMEND
	ds_read_b128 v[25:28], v42 offset:16
	ds_read_b128 v[74:77], v32 offset:272
	ds_read_b128 v[78:81], v42 offset:4624
	s_waitcnt lgkmcnt(1)
	;;#ASMSTART
	v_dot2_f32_f16 v1, v25, v74, v1
	;;#ASMEND
	;;#ASMSTART
	v_dot2_f32_f16 v1, v26, v75, v1
	;;#ASMEND
	;;#ASMSTART
	v_dot2_f32_f16 v1, v27, v76, v1
	;;#ASMEND
	;;#ASMSTART
	v_dot2_f32_f16 v1, v28, v77, v1
	;;#ASMEND
	s_waitcnt lgkmcnt(0)
	;;#ASMSTART
	v_dot2_f32_f16 v65, v78, v74, v65
	;;#ASMEND
	;;#ASMSTART
	v_dot2_f32_f16 v65, v79, v75, v65
	;;#ASMEND
	;;#ASMSTART
	v_dot2_f32_f16 v65, v80, v76, v65
	;;#ASMEND
	;;#ASMSTART
	v_dot2_f32_f16 v65, v81, v77, v65
	;;#ASMEND
	ds_read_b128 v[25:28], v42 offset:32
	;; [unrolled: 29-line block ×7, first 2 shown]
	ds_read_b128 v[74:77], v32 offset:368
	ds_read_b128 v[78:81], v42 offset:4720
	s_waitcnt lgkmcnt(1)
	;;#ASMSTART
	v_dot2_f32_f16 v1, v25, v74, v1
	;;#ASMEND
	;;#ASMSTART
	v_dot2_f32_f16 v1, v26, v75, v1
	;;#ASMEND
	;; [unrolled: 3-line block ×4, first 2 shown]
	s_waitcnt lgkmcnt(0)
	;;#ASMSTART
	v_dot2_f32_f16 v65, v78, v74, v65
	;;#ASMEND
	;;#ASMSTART
	v_dot2_f32_f16 v65, v79, v75, v65
	;;#ASMEND
	;; [unrolled: 3-line block ×4, first 2 shown]
	s_barrier
	global_load_dwordx4 v[25:28], v[21:22], off offset:384
	global_load_dwordx4 v[74:77], v[19:20], off offset:384
	s_waitcnt vmcnt(1)
	ds_write_b128 v40, v[25:28]
	s_waitcnt vmcnt(0)
	ds_write_b128 v41, v[74:77]
	s_waitcnt lgkmcnt(0)
	s_barrier
	ds_read_b128 v[25:28], v42
	ds_read_b128 v[74:77], v32 offset:384
	ds_read_b128 v[78:81], v42 offset:4608
	s_waitcnt lgkmcnt(1)
	;;#ASMSTART
	v_dot2_f32_f16 v1, v25, v74, v1
	;;#ASMEND
	;;#ASMSTART
	v_dot2_f32_f16 v1, v26, v75, v1
	;;#ASMEND
	;;#ASMSTART
	v_dot2_f32_f16 v1, v27, v76, v1
	;;#ASMEND
	;;#ASMSTART
	v_dot2_f32_f16 v1, v28, v77, v1
	;;#ASMEND
	s_waitcnt lgkmcnt(0)
	;;#ASMSTART
	v_dot2_f32_f16 v65, v78, v74, v65
	;;#ASMEND
	;;#ASMSTART
	v_dot2_f32_f16 v65, v79, v75, v65
	;;#ASMEND
	;;#ASMSTART
	v_dot2_f32_f16 v65, v80, v76, v65
	;;#ASMEND
	;;#ASMSTART
	v_dot2_f32_f16 v65, v81, v77, v65
	;;#ASMEND
	ds_read_b128 v[25:28], v42 offset:16
	ds_read_b128 v[74:77], v32 offset:400
	ds_read_b128 v[78:81], v42 offset:4624
	s_waitcnt lgkmcnt(1)
	;;#ASMSTART
	v_dot2_f32_f16 v1, v25, v74, v1
	;;#ASMEND
	;;#ASMSTART
	v_dot2_f32_f16 v1, v26, v75, v1
	;;#ASMEND
	;;#ASMSTART
	v_dot2_f32_f16 v1, v27, v76, v1
	;;#ASMEND
	;;#ASMSTART
	v_dot2_f32_f16 v1, v28, v77, v1
	;;#ASMEND
	s_waitcnt lgkmcnt(0)
	;;#ASMSTART
	v_dot2_f32_f16 v65, v78, v74, v65
	;;#ASMEND
	;;#ASMSTART
	v_dot2_f32_f16 v65, v79, v75, v65
	;;#ASMEND
	;;#ASMSTART
	v_dot2_f32_f16 v65, v80, v76, v65
	;;#ASMEND
	;;#ASMSTART
	v_dot2_f32_f16 v65, v81, v77, v65
	;;#ASMEND
	ds_read_b128 v[25:28], v42 offset:32
	;; [unrolled: 29-line block ×7, first 2 shown]
	ds_read_b128 v[74:77], v32 offset:496
	ds_read_b128 v[78:81], v42 offset:4720
	s_waitcnt lgkmcnt(1)
	;;#ASMSTART
	v_dot2_f32_f16 v1, v25, v74, v1
	;;#ASMEND
	;;#ASMSTART
	v_dot2_f32_f16 v1, v26, v75, v1
	;;#ASMEND
	;; [unrolled: 3-line block ×4, first 2 shown]
	s_waitcnt lgkmcnt(0)
	;;#ASMSTART
	v_dot2_f32_f16 v65, v78, v74, v65
	;;#ASMEND
	;;#ASMSTART
	v_dot2_f32_f16 v65, v79, v75, v65
	;;#ASMEND
	;; [unrolled: 3-line block ×4, first 2 shown]
	s_barrier
	global_load_dwordx4 v[25:28], v[21:22], off offset:512
	global_load_dwordx4 v[74:77], v[19:20], off offset:512
	s_waitcnt vmcnt(1)
	ds_write_b128 v40, v[25:28]
	s_waitcnt vmcnt(0)
	ds_write_b128 v41, v[74:77]
	s_waitcnt lgkmcnt(0)
	s_barrier
	ds_read_b128 v[25:28], v42
	ds_read_b128 v[74:77], v32 offset:512
	ds_read_b128 v[78:81], v42 offset:4608
	s_waitcnt lgkmcnt(1)
	;;#ASMSTART
	v_dot2_f32_f16 v1, v25, v74, v1
	;;#ASMEND
	;;#ASMSTART
	v_dot2_f32_f16 v1, v26, v75, v1
	;;#ASMEND
	;;#ASMSTART
	v_dot2_f32_f16 v1, v27, v76, v1
	;;#ASMEND
	;;#ASMSTART
	v_dot2_f32_f16 v1, v28, v77, v1
	;;#ASMEND
	s_waitcnt lgkmcnt(0)
	;;#ASMSTART
	v_dot2_f32_f16 v65, v78, v74, v65
	;;#ASMEND
	;;#ASMSTART
	v_dot2_f32_f16 v65, v79, v75, v65
	;;#ASMEND
	;;#ASMSTART
	v_dot2_f32_f16 v65, v80, v76, v65
	;;#ASMEND
	;;#ASMSTART
	v_dot2_f32_f16 v65, v81, v77, v65
	;;#ASMEND
	ds_read_b128 v[25:28], v42 offset:16
	ds_read_b128 v[74:77], v32 offset:528
	ds_read_b128 v[78:81], v42 offset:4624
	s_waitcnt lgkmcnt(1)
	;;#ASMSTART
	v_dot2_f32_f16 v1, v25, v74, v1
	;;#ASMEND
	;;#ASMSTART
	v_dot2_f32_f16 v1, v26, v75, v1
	;;#ASMEND
	;;#ASMSTART
	v_dot2_f32_f16 v1, v27, v76, v1
	;;#ASMEND
	;;#ASMSTART
	v_dot2_f32_f16 v1, v28, v77, v1
	;;#ASMEND
	s_waitcnt lgkmcnt(0)
	;;#ASMSTART
	v_dot2_f32_f16 v65, v78, v74, v65
	;;#ASMEND
	;;#ASMSTART
	v_dot2_f32_f16 v65, v79, v75, v65
	;;#ASMEND
	;;#ASMSTART
	v_dot2_f32_f16 v65, v80, v76, v65
	;;#ASMEND
	;;#ASMSTART
	v_dot2_f32_f16 v65, v81, v77, v65
	;;#ASMEND
	ds_read_b128 v[25:28], v42 offset:32
	;; [unrolled: 29-line block ×7, first 2 shown]
	ds_read_b128 v[74:77], v32 offset:624
	ds_read_b128 v[78:81], v42 offset:4720
	s_waitcnt lgkmcnt(1)
	;;#ASMSTART
	v_dot2_f32_f16 v1, v25, v74, v1
	;;#ASMEND
	;;#ASMSTART
	v_dot2_f32_f16 v1, v26, v75, v1
	;;#ASMEND
	;; [unrolled: 3-line block ×4, first 2 shown]
	s_waitcnt lgkmcnt(0)
	;;#ASMSTART
	v_dot2_f32_f16 v65, v78, v74, v65
	;;#ASMEND
	;;#ASMSTART
	v_dot2_f32_f16 v65, v79, v75, v65
	;;#ASMEND
	;; [unrolled: 3-line block ×4, first 2 shown]
	s_barrier
	global_load_dwordx4 v[25:28], v[21:22], off offset:640
	global_load_dwordx4 v[74:77], v[19:20], off offset:640
	s_waitcnt vmcnt(1)
	ds_write_b128 v40, v[25:28]
	s_waitcnt vmcnt(0)
	ds_write_b128 v41, v[74:77]
	s_waitcnt lgkmcnt(0)
	s_barrier
	ds_read_b128 v[25:28], v42
	ds_read_b128 v[74:77], v32 offset:640
	ds_read_b128 v[78:81], v42 offset:4608
	s_waitcnt lgkmcnt(1)
	;;#ASMSTART
	v_dot2_f32_f16 v1, v25, v74, v1
	;;#ASMEND
	;;#ASMSTART
	v_dot2_f32_f16 v1, v26, v75, v1
	;;#ASMEND
	;;#ASMSTART
	v_dot2_f32_f16 v1, v27, v76, v1
	;;#ASMEND
	;;#ASMSTART
	v_dot2_f32_f16 v1, v28, v77, v1
	;;#ASMEND
	s_waitcnt lgkmcnt(0)
	;;#ASMSTART
	v_dot2_f32_f16 v65, v78, v74, v65
	;;#ASMEND
	;;#ASMSTART
	v_dot2_f32_f16 v65, v79, v75, v65
	;;#ASMEND
	;;#ASMSTART
	v_dot2_f32_f16 v65, v80, v76, v65
	;;#ASMEND
	;;#ASMSTART
	v_dot2_f32_f16 v65, v81, v77, v65
	;;#ASMEND
	ds_read_b128 v[25:28], v42 offset:16
	ds_read_b128 v[74:77], v32 offset:656
	ds_read_b128 v[78:81], v42 offset:4624
	s_waitcnt lgkmcnt(1)
	;;#ASMSTART
	v_dot2_f32_f16 v1, v25, v74, v1
	;;#ASMEND
	;;#ASMSTART
	v_dot2_f32_f16 v1, v26, v75, v1
	;;#ASMEND
	;;#ASMSTART
	v_dot2_f32_f16 v1, v27, v76, v1
	;;#ASMEND
	;;#ASMSTART
	v_dot2_f32_f16 v1, v28, v77, v1
	;;#ASMEND
	s_waitcnt lgkmcnt(0)
	;;#ASMSTART
	v_dot2_f32_f16 v65, v78, v74, v65
	;;#ASMEND
	;;#ASMSTART
	v_dot2_f32_f16 v65, v79, v75, v65
	;;#ASMEND
	;;#ASMSTART
	v_dot2_f32_f16 v65, v80, v76, v65
	;;#ASMEND
	;;#ASMSTART
	v_dot2_f32_f16 v65, v81, v77, v65
	;;#ASMEND
	ds_read_b128 v[25:28], v42 offset:32
	;; [unrolled: 29-line block ×7, first 2 shown]
	ds_read_b128 v[74:77], v32 offset:752
	ds_read_b128 v[78:81], v42 offset:4720
	s_waitcnt lgkmcnt(1)
	;;#ASMSTART
	v_dot2_f32_f16 v1, v25, v74, v1
	;;#ASMEND
	;;#ASMSTART
	v_dot2_f32_f16 v1, v26, v75, v1
	;;#ASMEND
	;; [unrolled: 3-line block ×4, first 2 shown]
	s_waitcnt lgkmcnt(0)
	;;#ASMSTART
	v_dot2_f32_f16 v65, v78, v74, v65
	;;#ASMEND
	;;#ASMSTART
	v_dot2_f32_f16 v65, v79, v75, v65
	;;#ASMEND
	;; [unrolled: 3-line block ×4, first 2 shown]
	s_barrier
	global_load_dwordx4 v[25:28], v[21:22], off offset:768
	global_load_dwordx4 v[74:77], v[19:20], off offset:768
	s_waitcnt vmcnt(1)
	ds_write_b128 v40, v[25:28]
	s_waitcnt vmcnt(0)
	ds_write_b128 v41, v[74:77]
	s_waitcnt lgkmcnt(0)
	s_barrier
	ds_read_b128 v[25:28], v42
	ds_read_b128 v[74:77], v32 offset:768
	ds_read_b128 v[78:81], v42 offset:4608
	s_waitcnt lgkmcnt(1)
	;;#ASMSTART
	v_dot2_f32_f16 v1, v25, v74, v1
	;;#ASMEND
	;;#ASMSTART
	v_dot2_f32_f16 v1, v26, v75, v1
	;;#ASMEND
	;;#ASMSTART
	v_dot2_f32_f16 v1, v27, v76, v1
	;;#ASMEND
	;;#ASMSTART
	v_dot2_f32_f16 v1, v28, v77, v1
	;;#ASMEND
	s_waitcnt lgkmcnt(0)
	;;#ASMSTART
	v_dot2_f32_f16 v65, v78, v74, v65
	;;#ASMEND
	;;#ASMSTART
	v_dot2_f32_f16 v65, v79, v75, v65
	;;#ASMEND
	;;#ASMSTART
	v_dot2_f32_f16 v65, v80, v76, v65
	;;#ASMEND
	;;#ASMSTART
	v_dot2_f32_f16 v65, v81, v77, v65
	;;#ASMEND
	ds_read_b128 v[25:28], v42 offset:16
	ds_read_b128 v[74:77], v32 offset:784
	ds_read_b128 v[78:81], v42 offset:4624
	s_waitcnt lgkmcnt(1)
	;;#ASMSTART
	v_dot2_f32_f16 v1, v25, v74, v1
	;;#ASMEND
	;;#ASMSTART
	v_dot2_f32_f16 v1, v26, v75, v1
	;;#ASMEND
	;;#ASMSTART
	v_dot2_f32_f16 v1, v27, v76, v1
	;;#ASMEND
	;;#ASMSTART
	v_dot2_f32_f16 v1, v28, v77, v1
	;;#ASMEND
	s_waitcnt lgkmcnt(0)
	;;#ASMSTART
	v_dot2_f32_f16 v65, v78, v74, v65
	;;#ASMEND
	;;#ASMSTART
	v_dot2_f32_f16 v65, v79, v75, v65
	;;#ASMEND
	;;#ASMSTART
	v_dot2_f32_f16 v65, v80, v76, v65
	;;#ASMEND
	;;#ASMSTART
	v_dot2_f32_f16 v65, v81, v77, v65
	;;#ASMEND
	ds_read_b128 v[25:28], v42 offset:32
	;; [unrolled: 29-line block ×7, first 2 shown]
	ds_read_b128 v[74:77], v32 offset:880
	ds_read_b128 v[78:81], v42 offset:4720
	s_waitcnt lgkmcnt(1)
	;;#ASMSTART
	v_dot2_f32_f16 v1, v25, v74, v1
	;;#ASMEND
	;;#ASMSTART
	v_dot2_f32_f16 v1, v26, v75, v1
	;;#ASMEND
	;; [unrolled: 3-line block ×4, first 2 shown]
	s_waitcnt lgkmcnt(0)
	;;#ASMSTART
	v_dot2_f32_f16 v65, v78, v74, v65
	;;#ASMEND
	;;#ASMSTART
	v_dot2_f32_f16 v65, v79, v75, v65
	;;#ASMEND
	;; [unrolled: 3-line block ×4, first 2 shown]
	s_barrier
	global_load_dwordx4 v[25:28], v[21:22], off offset:896
	global_load_dwordx4 v[74:77], v[19:20], off offset:896
	s_waitcnt vmcnt(1)
	ds_write_b128 v40, v[25:28]
	s_waitcnt vmcnt(0)
	ds_write_b128 v41, v[74:77]
	s_waitcnt lgkmcnt(0)
	s_barrier
	ds_read_b128 v[25:28], v42
	ds_read_b128 v[74:77], v32 offset:896
	ds_read_b128 v[78:81], v42 offset:4608
	s_waitcnt lgkmcnt(1)
	;;#ASMSTART
	v_dot2_f32_f16 v1, v25, v74, v1
	;;#ASMEND
	;;#ASMSTART
	v_dot2_f32_f16 v1, v26, v75, v1
	;;#ASMEND
	;;#ASMSTART
	v_dot2_f32_f16 v1, v27, v76, v1
	;;#ASMEND
	;;#ASMSTART
	v_dot2_f32_f16 v1, v28, v77, v1
	;;#ASMEND
	s_waitcnt lgkmcnt(0)
	;;#ASMSTART
	v_dot2_f32_f16 v65, v78, v74, v65
	;;#ASMEND
	;;#ASMSTART
	v_dot2_f32_f16 v65, v79, v75, v65
	;;#ASMEND
	;;#ASMSTART
	v_dot2_f32_f16 v65, v80, v76, v65
	;;#ASMEND
	;;#ASMSTART
	v_dot2_f32_f16 v65, v81, v77, v65
	;;#ASMEND
	ds_read_b128 v[25:28], v42 offset:16
	ds_read_b128 v[74:77], v32 offset:912
	ds_read_b128 v[78:81], v42 offset:4624
	s_waitcnt lgkmcnt(1)
	;;#ASMSTART
	v_dot2_f32_f16 v1, v25, v74, v1
	;;#ASMEND
	;;#ASMSTART
	v_dot2_f32_f16 v1, v26, v75, v1
	;;#ASMEND
	;;#ASMSTART
	v_dot2_f32_f16 v1, v27, v76, v1
	;;#ASMEND
	;;#ASMSTART
	v_dot2_f32_f16 v1, v28, v77, v1
	;;#ASMEND
	s_waitcnt lgkmcnt(0)
	;;#ASMSTART
	v_dot2_f32_f16 v65, v78, v74, v65
	;;#ASMEND
	;;#ASMSTART
	v_dot2_f32_f16 v65, v79, v75, v65
	;;#ASMEND
	;;#ASMSTART
	v_dot2_f32_f16 v65, v80, v76, v65
	;;#ASMEND
	;;#ASMSTART
	v_dot2_f32_f16 v65, v81, v77, v65
	;;#ASMEND
	ds_read_b128 v[25:28], v42 offset:32
	ds_read_b128 v[74:77], v32 offset:928
	ds_read_b128 v[78:81], v42 offset:4640
	s_waitcnt lgkmcnt(1)
	;;#ASMSTART
	v_dot2_f32_f16 v1, v25, v74, v1
	;;#ASMEND
	;;#ASMSTART
	v_dot2_f32_f16 v1, v26, v75, v1
	;;#ASMEND
	;;#ASMSTART
	v_dot2_f32_f16 v1, v27, v76, v1
	;;#ASMEND
	;;#ASMSTART
	v_dot2_f32_f16 v1, v28, v77, v1
	;;#ASMEND
	s_waitcnt lgkmcnt(0)
	;;#ASMSTART
	v_dot2_f32_f16 v65, v78, v74, v65
	;;#ASMEND
	;;#ASMSTART
	v_dot2_f32_f16 v65, v79, v75, v65
	;;#ASMEND
	;;#ASMSTART
	v_dot2_f32_f16 v65, v80, v76, v65
	;;#ASMEND
	;;#ASMSTART
	v_dot2_f32_f16 v65, v81, v77, v65
	;;#ASMEND
	ds_read_b128 v[25:28], v42 offset:48
	ds_read_b128 v[74:77], v32 offset:944
	ds_read_b128 v[78:81], v42 offset:4656
	s_waitcnt lgkmcnt(1)
	;;#ASMSTART
	v_dot2_f32_f16 v1, v25, v74, v1
	;;#ASMEND
	;;#ASMSTART
	v_dot2_f32_f16 v1, v26, v75, v1
	;;#ASMEND
	;;#ASMSTART
	v_dot2_f32_f16 v1, v27, v76, v1
	;;#ASMEND
	;;#ASMSTART
	v_dot2_f32_f16 v1, v28, v77, v1
	;;#ASMEND
	s_waitcnt lgkmcnt(0)
	;;#ASMSTART
	v_dot2_f32_f16 v65, v78, v74, v65
	;;#ASMEND
	;;#ASMSTART
	v_dot2_f32_f16 v65, v79, v75, v65
	;;#ASMEND
	;;#ASMSTART
	v_dot2_f32_f16 v65, v80, v76, v65
	;;#ASMEND
	;;#ASMSTART
	v_dot2_f32_f16 v65, v81, v77, v65
	;;#ASMEND
	ds_read_b128 v[25:28], v42 offset:64
	ds_read_b128 v[74:77], v32 offset:960
	ds_read_b128 v[78:81], v42 offset:4672
	s_waitcnt lgkmcnt(1)
	;;#ASMSTART
	v_dot2_f32_f16 v1, v25, v74, v1
	;;#ASMEND
	;;#ASMSTART
	v_dot2_f32_f16 v1, v26, v75, v1
	;;#ASMEND
	;;#ASMSTART
	v_dot2_f32_f16 v1, v27, v76, v1
	;;#ASMEND
	;;#ASMSTART
	v_dot2_f32_f16 v1, v28, v77, v1
	;;#ASMEND
	s_waitcnt lgkmcnt(0)
	;;#ASMSTART
	v_dot2_f32_f16 v65, v78, v74, v65
	;;#ASMEND
	;;#ASMSTART
	v_dot2_f32_f16 v65, v79, v75, v65
	;;#ASMEND
	;;#ASMSTART
	v_dot2_f32_f16 v65, v80, v76, v65
	;;#ASMEND
	;;#ASMSTART
	v_dot2_f32_f16 v65, v81, v77, v65
	;;#ASMEND
	ds_read_b128 v[25:28], v42 offset:80
	ds_read_b128 v[74:77], v32 offset:976
	ds_read_b128 v[78:81], v42 offset:4688
	s_waitcnt lgkmcnt(1)
	;;#ASMSTART
	v_dot2_f32_f16 v1, v25, v74, v1
	;;#ASMEND
	;;#ASMSTART
	v_dot2_f32_f16 v1, v26, v75, v1
	;;#ASMEND
	;;#ASMSTART
	v_dot2_f32_f16 v1, v27, v76, v1
	;;#ASMEND
	;;#ASMSTART
	v_dot2_f32_f16 v1, v28, v77, v1
	;;#ASMEND
	s_waitcnt lgkmcnt(0)
	;;#ASMSTART
	v_dot2_f32_f16 v65, v78, v74, v65
	;;#ASMEND
	;;#ASMSTART
	v_dot2_f32_f16 v65, v79, v75, v65
	;;#ASMEND
	;;#ASMSTART
	v_dot2_f32_f16 v65, v80, v76, v65
	;;#ASMEND
	;;#ASMSTART
	v_dot2_f32_f16 v65, v81, v77, v65
	;;#ASMEND
	ds_read_b128 v[25:28], v42 offset:96
	ds_read_b128 v[74:77], v32 offset:992
	ds_read_b128 v[78:81], v42 offset:4704
	s_waitcnt lgkmcnt(1)
	;;#ASMSTART
	v_dot2_f32_f16 v1, v25, v74, v1
	;;#ASMEND
	;;#ASMSTART
	v_dot2_f32_f16 v1, v26, v75, v1
	;;#ASMEND
	;;#ASMSTART
	v_dot2_f32_f16 v1, v27, v76, v1
	;;#ASMEND
	;;#ASMSTART
	v_dot2_f32_f16 v1, v28, v77, v1
	;;#ASMEND
	s_waitcnt lgkmcnt(0)
	;;#ASMSTART
	v_dot2_f32_f16 v65, v78, v74, v65
	;;#ASMEND
	;;#ASMSTART
	v_dot2_f32_f16 v65, v79, v75, v65
	;;#ASMEND
	;;#ASMSTART
	v_dot2_f32_f16 v65, v80, v76, v65
	;;#ASMEND
	;;#ASMSTART
	v_dot2_f32_f16 v65, v81, v77, v65
	;;#ASMEND
	ds_read_b128 v[25:28], v42 offset:112
	ds_read_b128 v[74:77], v32 offset:1008
	ds_read_b128 v[78:81], v42 offset:4720
	s_waitcnt lgkmcnt(1)
	;;#ASMSTART
	v_dot2_f32_f16 v1, v25, v74, v1
	;;#ASMEND
	;;#ASMSTART
	v_dot2_f32_f16 v1, v26, v75, v1
	;;#ASMEND
	;; [unrolled: 3-line block ×4, first 2 shown]
	v_add_co_u32_e32 v25, vcc, s18, v48
	s_waitcnt lgkmcnt(0)
	;;#ASMSTART
	v_dot2_f32_f16 v65, v78, v74, v65
	;;#ASMEND
	v_addc_co_u32_e32 v26, vcc, v49, v18, vcc
	v_addc_co_u32_e64 v10, vcc, v49, v23, s[0:1]
	;;#ASMSTART
	v_dot2_f32_f16 v65, v79, v75, v65
	;;#ASMEND
	v_add_co_u32_e64 v27, s[10:11], s10, v48
	v_add_co_u32_e32 v23, vcc, s14, v48
	;;#ASMSTART
	v_dot2_f32_f16 v65, v80, v76, v65
	;;#ASMEND
	v_addc_co_u32_e64 v28, s[10:11], v49, v8, s[10:11]
	v_addc_co_u32_e32 v24, vcc, v49, v24, vcc
	v_addc_co_u32_e64 v8, vcc, v49, v72, s[2:3]
	v_addc_co_u32_e64 v18, vcc, v49, v73, s[8:9]
	;;#ASMSTART
	v_dot2_f32_f16 v65, v81, v77, v65
	;;#ASMEND
	s_barrier
	global_load_dwordx4 v[72:75], v[21:22], off offset:1024
	s_nop 0
	global_load_dwordx4 v[19:22], v[19:20], off offset:1024
	s_waitcnt vmcnt(1)
	ds_write_b128 v40, v[72:75]
	s_waitcnt vmcnt(0)
	ds_write_b128 v41, v[19:22]
	s_waitcnt lgkmcnt(0)
	s_barrier
	ds_read_b128 v[19:22], v42
	ds_read_b128 v[72:75], v32 offset:1024
	ds_read_b128 v[76:79], v42 offset:4608
	s_waitcnt lgkmcnt(1)
	;;#ASMSTART
	v_dot2_f32_f16 v1, v19, v72, v1
	;;#ASMEND
	;;#ASMSTART
	v_dot2_f32_f16 v1, v20, v73, v1
	;;#ASMEND
	;;#ASMSTART
	v_dot2_f32_f16 v1, v21, v74, v1
	;;#ASMEND
	;;#ASMSTART
	v_dot2_f32_f16 v1, v22, v75, v1
	;;#ASMEND
	s_waitcnt lgkmcnt(0)
	;;#ASMSTART
	v_dot2_f32_f16 v65, v76, v72, v65
	;;#ASMEND
	;;#ASMSTART
	v_dot2_f32_f16 v65, v77, v73, v65
	;;#ASMEND
	;;#ASMSTART
	v_dot2_f32_f16 v65, v78, v74, v65
	;;#ASMEND
	;;#ASMSTART
	v_dot2_f32_f16 v65, v79, v75, v65
	;;#ASMEND
	ds_read_b128 v[19:22], v42 offset:16
	ds_read_b128 v[72:75], v32 offset:1040
	ds_read_b128 v[76:79], v42 offset:4624
	s_waitcnt lgkmcnt(1)
	;;#ASMSTART
	v_dot2_f32_f16 v1, v19, v72, v1
	;;#ASMEND
	;;#ASMSTART
	v_dot2_f32_f16 v1, v20, v73, v1
	;;#ASMEND
	;;#ASMSTART
	v_dot2_f32_f16 v1, v21, v74, v1
	;;#ASMEND
	;;#ASMSTART
	v_dot2_f32_f16 v1, v22, v75, v1
	;;#ASMEND
	s_waitcnt lgkmcnt(0)
	;;#ASMSTART
	v_dot2_f32_f16 v65, v76, v72, v65
	;;#ASMEND
	;;#ASMSTART
	v_dot2_f32_f16 v65, v77, v73, v65
	;;#ASMEND
	;;#ASMSTART
	v_dot2_f32_f16 v65, v78, v74, v65
	;;#ASMEND
	;;#ASMSTART
	v_dot2_f32_f16 v65, v79, v75, v65
	;;#ASMEND
	ds_read_b128 v[19:22], v42 offset:32
	;; [unrolled: 29-line block ×7, first 2 shown]
	ds_read_b128 v[72:75], v32 offset:1136
	ds_read_b128 v[76:79], v42 offset:4720
	s_waitcnt lgkmcnt(1)
	;;#ASMSTART
	v_dot2_f32_f16 v1, v19, v72, v1
	;;#ASMEND
	;;#ASMSTART
	v_dot2_f32_f16 v1, v20, v73, v1
	;;#ASMEND
	;; [unrolled: 3-line block ×4, first 2 shown]
	s_waitcnt lgkmcnt(0)
	;;#ASMSTART
	v_dot2_f32_f16 v65, v76, v72, v65
	;;#ASMEND
	;;#ASMSTART
	v_dot2_f32_f16 v65, v77, v73, v65
	;;#ASMEND
	;; [unrolled: 3-line block ×4, first 2 shown]
	global_load_ushort v76, v[15:16], off
	s_nop 0
	global_load_ushort v15, v[15:16], off offset:64
	s_waitcnt vmcnt(0)
	s_barrier
	global_load_dwordx4 v[19:22], v[13:14], off
	global_load_dwordx4 v[72:75], v[13:14], off offset:512
	v_cvt_f32_f16_e32 v13, v76
	v_cvt_f32_f16_e32 v14, v15
	v_add_f32_e32 v13, v1, v13
	v_add_f32_e32 v14, v65, v14
	;; [unrolled: 1-line block ×4, first 2 shown]
	v_max3_f32 v1, v64, v1, v15
	ds_bpermute_b32 v15, v71, v1
	s_waitcnt lgkmcnt(0)
	v_max_f32_e32 v15, v15, v15
	v_max_f32_e32 v1, v1, v15
	ds_bpermute_b32 v15, v70, v1
	s_waitcnt lgkmcnt(0)
	v_max_f32_e32 v15, v15, v15
	v_max_f32_e32 v1, v1, v15
	;; [unrolled: 4-line block ×5, first 2 shown]
	v_sub_f32_e32 v15, v64, v1
	v_sub_f32_e32 v13, v13, v1
	;; [unrolled: 1-line block ×3, first 2 shown]
	v_mul_f32_e32 v16, 0x3fb8aa3b, v13
	v_mul_f32_e32 v64, 0x3fb8aa3b, v14
	;; [unrolled: 1-line block ×3, first 2 shown]
	v_fma_f32 v67, v13, s31, -v16
	v_rndne_f32_e32 v68, v16
	v_fma_f32 v69, v14, s31, -v64
	v_rndne_f32_e32 v70, v64
	;; [unrolled: 2-line block ×3, first 2 shown]
	v_fmac_f32_e32 v67, 0x32a5705f, v13
	v_sub_f32_e32 v16, v16, v68
	v_fmac_f32_e32 v69, 0x32a5705f, v14
	v_sub_f32_e32 v64, v64, v70
	;; [unrolled: 2-line block ×3, first 2 shown]
	v_add_f32_e32 v16, v16, v67
	v_add_f32_e32 v64, v64, v69
	;; [unrolled: 1-line block ×3, first 2 shown]
	v_cvt_i32_f32_e32 v68, v68
	v_cvt_i32_f32_e32 v70, v70
	;; [unrolled: 1-line block ×3, first 2 shown]
	v_exp_f32_e32 v16, v16
	v_exp_f32_e32 v64, v64
	;; [unrolled: 1-line block ×3, first 2 shown]
	v_cmp_ngt_f32_e32 vcc, s36, v14
	v_ldexp_f32 v16, v16, v68
	v_ldexp_f32 v64, v64, v70
	v_ldexp_f32 v65, v65, v76
	v_cmp_ngt_f32_e64 s[0:1], s36, v15
	v_cmp_ngt_f32_e64 s[2:3], s36, v13
	v_cndmask_b32_e64 v16, 0, v16, s[2:3]
	v_cndmask_b32_e32 v64, 0, v64, vcc
	v_cmp_nlt_f32_e32 vcc, s37, v14
	v_cndmask_b32_e64 v14, 0, v65, s[0:1]
	v_cmp_nlt_f32_e64 s[0:1], s37, v15
	v_cmp_nlt_f32_e64 s[2:3], s37, v13
	v_cndmask_b32_e64 v13, v52, v16, s[2:3]
	v_cndmask_b32_e64 v14, v52, v14, s[0:1]
	v_cndmask_b32_e32 v15, v52, v64, vcc
	v_cvt_f16_f32_e32 v16, v13
	v_cvt_f16_f32_e32 v64, v14
	v_add_f32_e32 v13, v13, v15
	v_cvt_f16_f32_e32 v15, v15
	v_fmac_f32_e32 v13, v66, v14
	v_mul_u32_u24_e32 v14, 0x10001, v64
	ds_write_b16 v44, v16
	ds_write_b16 v44, v15 offset:64
	s_waitcnt vmcnt(1)
	ds_write_b128 v45, v[19:22]
	s_waitcnt vmcnt(0)
	ds_write_b128 v46, v[72:75]
	s_waitcnt lgkmcnt(0)
	s_barrier
	ds_read2_b64 v[19:22], v47 offset1:32
	ds_read2_b64 v[64:67], v47 offset0:64 offset1:96
	ds_read_b128 v[68:71], v43
	ds_read2_b64 v[72:75], v47 offset0:128 offset1:160
	ds_read2_b64 v[76:79], v47 offset0:192 offset1:224
	v_pk_mul_f16 v15, v60, v14
	v_pk_mul_f16 v16, v61, v14
	s_waitcnt lgkmcnt(2)
	v_mul_u32_u24_sdwa v60, v68, s38 dst_sel:DWORD dst_unused:UNUSED_PAD src0_sel:WORD_0 src1_sel:DWORD
	v_pk_mul_f16 v58, v58, v14
	v_pk_mul_f16 v59, v59, v14
	;; [unrolled: 1-line block ×6, first 2 shown]
	v_pk_fma_f16 v15, v21, v60, v15
	v_pk_fma_f16 v16, v22, v60, v16
	ds_read2_b64 v[19:22], v53 offset1:32
	v_pk_fma_f16 v64, v64, v60, v58
	v_pk_fma_f16 v65, v65, v60, v59
	;; [unrolled: 1-line block ×4, first 2 shown]
	ds_read2_b64 v[56:59], v53 offset0:64 offset1:96
	v_mul_u32_u24_sdwa v68, v68, s38 dst_sel:DWORD dst_unused:UNUSED_PAD src0_sel:WORD_1 src1_sel:DWORD
	s_waitcnt lgkmcnt(2)
	v_pk_fma_f16 v76, v76, v68, v64
	v_pk_fma_f16 v77, v77, v68, v65
	;; [unrolled: 1-line block ×4, first 2 shown]
	ds_read2_b64 v[64:67], v53 offset0:192 offset1:224
	v_pk_fma_f16 v81, v62, v14, v61
	v_pk_fma_f16 v14, v63, v14, v80
	ds_read2_b64 v[60:63], v53 offset0:128 offset1:160
	v_pk_fma_f16 v15, v74, v68, v15
	v_pk_fma_f16 v16, v75, v68, v16
	;; [unrolled: 1-line block ×4, first 2 shown]
	v_mul_u32_u24_sdwa v68, v69, s38 dst_sel:DWORD dst_unused:UNUSED_PAD src0_sel:WORD_0 src1_sel:DWORD
	ds_read2_b64 v[72:75], v54 offset1:32
	s_waitcnt lgkmcnt(3)
	v_pk_fma_f16 v76, v56, v68, v76
	v_pk_fma_f16 v77, v57, v68, v77
	;; [unrolled: 1-line block ×4, first 2 shown]
	ds_read2_b64 v[56:59], v54 offset0:64 offset1:96
	v_pk_fma_f16 v15, v21, v68, v15
	v_pk_fma_f16 v16, v22, v68, v16
	;; [unrolled: 1-line block ×4, first 2 shown]
	v_mul_u32_u24_sdwa v68, v69, s38 dst_sel:DWORD dst_unused:UNUSED_PAD src0_sel:WORD_1 src1_sel:DWORD
	ds_read2_b64 v[19:22], v54 offset0:128 offset1:160
	s_waitcnt lgkmcnt(4)
	v_pk_fma_f16 v69, v64, v68, v76
	v_pk_fma_f16 v76, v65, v68, v77
	;; [unrolled: 1-line block ×4, first 2 shown]
	ds_read2_b64 v[64:67], v54 offset0:192 offset1:224
	s_waitcnt lgkmcnt(4)
	v_pk_fma_f16 v15, v62, v68, v15
	v_pk_fma_f16 v16, v63, v68, v16
	;; [unrolled: 1-line block ×4, first 2 shown]
	v_mul_u32_u24_sdwa v68, v70, s38 dst_sel:DWORD dst_unused:UNUSED_PAD src0_sel:WORD_0 src1_sel:DWORD
	s_waitcnt lgkmcnt(2)
	v_pk_fma_f16 v69, v56, v68, v69
	v_pk_fma_f16 v76, v57, v68, v76
	;; [unrolled: 1-line block ×8, first 2 shown]
	v_mul_u32_u24_sdwa v68, v70, s38 dst_sel:DWORD dst_unused:UNUSED_PAD src0_sel:WORD_1 src1_sel:DWORD
	ds_read2_b64 v[60:63], v55 offset1:32
	ds_read2_b64 v[56:59], v55 offset0:64 offset1:96
	ds_read2_b64 v[72:75], v55 offset0:128 offset1:160
	s_waitcnt lgkmcnt(3)
	v_pk_fma_f16 v80, v64, v68, v69
	v_pk_fma_f16 v76, v65, v68, v76
	;; [unrolled: 1-line block ×4, first 2 shown]
	ds_read2_b64 v[64:67], v55 offset0:192 offset1:224
	s_waitcnt lgkmcnt(0)
	s_barrier
	v_pk_fma_f16 v15, v21, v68, v15
	v_pk_fma_f16 v16, v22, v68, v16
	;; [unrolled: 1-line block ×4, first 2 shown]
	global_load_dwordx4 v[19:22], v[27:28], off
	v_mul_u32_u24_sdwa v81, v71, s38 dst_sel:DWORD dst_unused:UNUSED_PAD src0_sel:WORD_0 src1_sel:DWORD
	v_mul_u32_u24_sdwa v82, v71, s38 dst_sel:DWORD dst_unused:UNUSED_PAD src0_sel:WORD_1 src1_sel:DWORD
	global_load_dwordx4 v[68:71], v[27:28], off offset:512
	v_pk_fma_f16 v15, v62, v81, v15
	v_pk_fma_f16 v16, v63, v81, v16
	;; [unrolled: 1-line block ×16, first 2 shown]
	s_waitcnt vmcnt(1)
	ds_write_b128 v45, v[19:22]
	s_waitcnt vmcnt(0)
	ds_write_b128 v46, v[68:71]
	s_waitcnt lgkmcnt(0)
	s_barrier
	ds_read2_b64 v[19:22], v47 offset1:32
	ds_read_b128 v[56:59], v43 offset:16
	ds_read2_b64 v[60:63], v47 offset0:64 offset1:96
	ds_read2_b64 v[64:67], v47 offset0:128 offset1:160
	;; [unrolled: 1-line block ×3, first 2 shown]
	ds_read2_b64 v[72:75], v53 offset1:32
	s_waitcnt lgkmcnt(4)
	v_mul_u32_u24_sdwa v79, v56, s38 dst_sel:DWORD dst_unused:UNUSED_PAD src0_sel:WORD_0 src1_sel:DWORD
	v_pk_fma_f16 v78, v19, v79, v78
	v_pk_fma_f16 v14, v20, v79, v14
	;; [unrolled: 1-line block ×4, first 2 shown]
	ds_read2_b64 v[19:22], v53 offset0:64 offset1:96
	s_waitcnt lgkmcnt(4)
	v_pk_fma_f16 v27, v60, v79, v27
	v_pk_fma_f16 v28, v61, v79, v28
	;; [unrolled: 1-line block ×4, first 2 shown]
	ds_read2_b64 v[60:63], v53 offset0:128 offset1:160
	v_mul_u32_u24_sdwa v56, v56, s38 dst_sel:DWORD dst_unused:UNUSED_PAD src0_sel:WORD_1 src1_sel:DWORD
	s_waitcnt lgkmcnt(4)
	v_pk_fma_f16 v78, v64, v56, v78
	v_pk_fma_f16 v14, v65, v56, v14
	v_pk_fma_f16 v15, v66, v56, v15
	v_pk_fma_f16 v16, v67, v56, v16
	ds_read2_b64 v[64:67], v53 offset0:192 offset1:224
	s_waitcnt lgkmcnt(4)
	v_pk_fma_f16 v27, v68, v56, v27
	v_pk_fma_f16 v28, v69, v56, v28
	;; [unrolled: 1-line block ×4, first 2 shown]
	v_mul_u32_u24_sdwa v77, v57, s38 dst_sel:DWORD dst_unused:UNUSED_PAD src0_sel:WORD_0 src1_sel:DWORD
	ds_read2_b64 v[68:71], v54 offset1:32
	s_waitcnt lgkmcnt(4)
	v_pk_fma_f16 v78, v72, v77, v78
	v_pk_fma_f16 v14, v73, v77, v14
	;; [unrolled: 1-line block ×4, first 2 shown]
	ds_read2_b64 v[72:75], v54 offset0:64 offset1:96
	v_mul_u32_u24_sdwa v57, v57, s38 dst_sel:DWORD dst_unused:UNUSED_PAD src0_sel:WORD_1 src1_sel:DWORD
	s_waitcnt lgkmcnt(4)
	v_pk_fma_f16 v27, v19, v77, v27
	v_pk_fma_f16 v28, v20, v77, v28
	;; [unrolled: 1-line block ×4, first 2 shown]
	ds_read2_b64 v[19:22], v54 offset0:128 offset1:160
	s_waitcnt lgkmcnt(4)
	v_pk_fma_f16 v77, v60, v57, v78
	v_pk_fma_f16 v14, v61, v57, v14
	;; [unrolled: 1-line block ×4, first 2 shown]
	ds_read2_b64 v[60:63], v54 offset0:192 offset1:224
	s_waitcnt lgkmcnt(4)
	v_pk_fma_f16 v27, v64, v57, v27
	v_pk_fma_f16 v28, v65, v57, v28
	;; [unrolled: 1-line block ×4, first 2 shown]
	v_mul_u32_u24_sdwa v57, v58, s38 dst_sel:DWORD dst_unused:UNUSED_PAD src0_sel:WORD_0 src1_sel:DWORD
	s_waitcnt lgkmcnt(3)
	v_pk_fma_f16 v77, v68, v57, v77
	v_pk_fma_f16 v14, v69, v57, v14
	;; [unrolled: 1-line block ×4, first 2 shown]
	s_waitcnt lgkmcnt(2)
	v_pk_fma_f16 v27, v72, v57, v27
	v_pk_fma_f16 v28, v73, v57, v28
	;; [unrolled: 1-line block ×4, first 2 shown]
	v_mul_u32_u24_sdwa v57, v58, s38 dst_sel:DWORD dst_unused:UNUSED_PAD src0_sel:WORD_1 src1_sel:DWORD
	ds_read2_b64 v[64:67], v55 offset1:32
	ds_read2_b64 v[68:71], v55 offset0:64 offset1:96
	ds_read2_b64 v[72:75], v55 offset0:128 offset1:160
	s_waitcnt lgkmcnt(4)
	v_pk_fma_f16 v58, v19, v57, v77
	v_pk_fma_f16 v14, v20, v57, v14
	;; [unrolled: 1-line block ×4, first 2 shown]
	ds_read2_b64 v[19:22], v55 offset0:192 offset1:224
	s_waitcnt lgkmcnt(0)
	s_barrier
	v_pk_fma_f16 v27, v60, v57, v27
	v_pk_fma_f16 v28, v61, v57, v28
	;; [unrolled: 1-line block ×4, first 2 shown]
	global_load_dwordx4 v[60:63], v[11:12], off
	global_load_dwordx4 v[76:79], v[11:12], off offset:512
	v_mul_u32_u24_sdwa v11, v59, s38 dst_sel:DWORD dst_unused:UNUSED_PAD src0_sel:WORD_0 src1_sel:DWORD
	v_mul_u32_u24_sdwa v12, v59, s38 dst_sel:DWORD dst_unused:UNUSED_PAD src0_sel:WORD_1 src1_sel:DWORD
	v_pk_fma_f16 v57, v64, v11, v58
	v_pk_fma_f16 v14, v65, v11, v14
	;; [unrolled: 1-line block ×16, first 2 shown]
	s_waitcnt vmcnt(1)
	ds_write_b128 v45, v[60:63]
	s_waitcnt vmcnt(0)
	ds_write_b128 v46, v[76:79]
	s_waitcnt lgkmcnt(0)
	s_barrier
	ds_read2_b64 v[19:22], v47 offset1:32
	ds_read2_b64 v[56:59], v47 offset0:64 offset1:96
	ds_read_b128 v[60:63], v43 offset:32
	ds_read2_b64 v[64:67], v47 offset0:128 offset1:160
	ds_read2_b64 v[68:71], v47 offset0:192 offset1:224
	ds_read2_b64 v[72:75], v53 offset1:32
	ds_read2_b64 v[76:79], v53 offset0:64 offset1:96
	s_waitcnt lgkmcnt(4)
	v_mul_u32_u24_sdwa v12, v60, s38 dst_sel:DWORD dst_unused:UNUSED_PAD src0_sel:WORD_0 src1_sel:DWORD
	v_pk_fma_f16 v80, v19, v12, v80
	v_pk_fma_f16 v14, v20, v12, v14
	;; [unrolled: 1-line block ×4, first 2 shown]
	ds_read2_b64 v[19:22], v53 offset0:128 offset1:160
	v_pk_fma_f16 v27, v56, v12, v27
	v_pk_fma_f16 v28, v57, v12, v28
	;; [unrolled: 1-line block ×4, first 2 shown]
	v_mul_u32_u24_sdwa v12, v60, s38 dst_sel:DWORD dst_unused:UNUSED_PAD src0_sel:WORD_1 src1_sel:DWORD
	ds_read2_b64 v[56:59], v53 offset0:192 offset1:224
	s_waitcnt lgkmcnt(5)
	v_pk_fma_f16 v60, v64, v12, v80
	v_pk_fma_f16 v14, v65, v12, v14
	;; [unrolled: 1-line block ×4, first 2 shown]
	ds_read2_b64 v[64:67], v54 offset1:32
	s_waitcnt lgkmcnt(5)
	v_pk_fma_f16 v27, v68, v12, v27
	v_pk_fma_f16 v28, v69, v12, v28
	;; [unrolled: 1-line block ×4, first 2 shown]
	v_mul_u32_u24_sdwa v12, v61, s38 dst_sel:DWORD dst_unused:UNUSED_PAD src0_sel:WORD_0 src1_sel:DWORD
	ds_read2_b64 v[68:71], v54 offset0:64 offset1:96
	s_waitcnt lgkmcnt(5)
	v_pk_fma_f16 v81, v72, v12, v60
	v_pk_fma_f16 v14, v73, v12, v14
	;; [unrolled: 1-line block ×4, first 2 shown]
	ds_read2_b64 v[72:75], v54 offset0:128 offset1:160
	s_waitcnt lgkmcnt(5)
	v_pk_fma_f16 v27, v76, v12, v27
	v_pk_fma_f16 v28, v77, v12, v28
	;; [unrolled: 1-line block ×4, first 2 shown]
	v_mul_u32_u24_sdwa v12, v61, s38 dst_sel:DWORD dst_unused:UNUSED_PAD src0_sel:WORD_1 src1_sel:DWORD
	v_mul_u32_u24_sdwa v77, v62, s38 dst_sel:DWORD dst_unused:UNUSED_PAD src0_sel:WORD_0 src1_sel:DWORD
	s_waitcnt lgkmcnt(4)
	v_pk_fma_f16 v81, v19, v12, v81
	v_pk_fma_f16 v14, v20, v12, v14
	v_pk_fma_f16 v15, v21, v12, v15
	v_pk_fma_f16 v16, v22, v12, v16
	v_mul_u32_u24_sdwa v78, v62, s38 dst_sel:DWORD dst_unused:UNUSED_PAD src0_sel:WORD_1 src1_sel:DWORD
	s_waitcnt lgkmcnt(3)
	v_pk_fma_f16 v27, v56, v12, v27
	v_pk_fma_f16 v28, v57, v12, v28
	;; [unrolled: 1-line block ×4, first 2 shown]
	s_waitcnt lgkmcnt(2)
	v_pk_fma_f16 v12, v64, v77, v81
	v_pk_fma_f16 v14, v65, v77, v14
	;; [unrolled: 1-line block ×4, first 2 shown]
	v_mul_u32_u24_sdwa v79, v63, s38 dst_sel:DWORD dst_unused:UNUSED_PAD src0_sel:WORD_0 src1_sel:DWORD
	v_mul_u32_u24_sdwa v80, v63, s38 dst_sel:DWORD dst_unused:UNUSED_PAD src0_sel:WORD_1 src1_sel:DWORD
	ds_read2_b64 v[60:63], v54 offset0:192 offset1:224
	ds_read2_b64 v[19:22], v55 offset1:32
	ds_read2_b64 v[56:59], v55 offset0:64 offset1:96
	ds_read2_b64 v[64:67], v55 offset0:128 offset1:160
	s_waitcnt lgkmcnt(5)
	v_pk_fma_f16 v81, v68, v77, v27
	v_pk_fma_f16 v82, v69, v77, v28
	;; [unrolled: 1-line block ×4, first 2 shown]
	ds_read2_b64 v[68:71], v55 offset0:192 offset1:224
	s_waitcnt lgkmcnt(0)
	s_barrier
	v_pk_fma_f16 v12, v72, v78, v12
	v_pk_fma_f16 v14, v73, v78, v14
	v_pk_fma_f16 v15, v74, v78, v15
	v_pk_fma_f16 v16, v75, v78, v16
	global_load_dwordx4 v[72:75], v[25:26], off
	s_nop 0
	global_load_dwordx4 v[25:28], v[25:26], off offset:512
	v_pk_fma_f16 v60, v60, v78, v81
	v_pk_fma_f16 v61, v61, v78, v82
	;; [unrolled: 1-line block ×20, first 2 shown]
	s_waitcnt vmcnt(1)
	ds_write_b128 v45, v[72:75]
	s_waitcnt vmcnt(0)
	ds_write_b128 v46, v[25:28]
	s_waitcnt lgkmcnt(0)
	s_barrier
	ds_read2_b64 v[19:22], v47 offset1:32
	ds_read2_b64 v[25:28], v47 offset0:64 offset1:96
	ds_read_b128 v[56:59], v43 offset:48
	ds_read2_b64 v[60:63], v47 offset0:128 offset1:160
	ds_read2_b64 v[64:67], v47 offset0:192 offset1:224
	ds_read2_b64 v[68:71], v53 offset1:32
	ds_read2_b64 v[72:75], v53 offset0:64 offset1:96
	s_waitcnt lgkmcnt(4)
	v_mul_u32_u24_sdwa v79, v56, s38 dst_sel:DWORD dst_unused:UNUSED_PAD src0_sel:WORD_0 src1_sel:DWORD
	v_pk_fma_f16 v12, v19, v79, v12
	v_pk_fma_f16 v14, v20, v79, v14
	;; [unrolled: 1-line block ×4, first 2 shown]
	ds_read2_b64 v[19:22], v53 offset0:128 offset1:160
	v_pk_fma_f16 v76, v25, v79, v76
	v_pk_fma_f16 v77, v26, v79, v77
	;; [unrolled: 1-line block ×4, first 2 shown]
	ds_read2_b64 v[25:28], v53 offset0:192 offset1:224
	v_mul_u32_u24_sdwa v56, v56, s38 dst_sel:DWORD dst_unused:UNUSED_PAD src0_sel:WORD_1 src1_sel:DWORD
	s_waitcnt lgkmcnt(5)
	v_pk_fma_f16 v12, v60, v56, v12
	v_pk_fma_f16 v14, v61, v56, v14
	;; [unrolled: 1-line block ×4, first 2 shown]
	ds_read2_b64 v[60:63], v54 offset1:32
	s_waitcnt lgkmcnt(5)
	v_pk_fma_f16 v76, v64, v56, v76
	v_pk_fma_f16 v77, v65, v56, v77
	;; [unrolled: 1-line block ×4, first 2 shown]
	ds_read2_b64 v[64:67], v54 offset0:64 offset1:96
	v_mul_u32_u24_sdwa v56, v57, s38 dst_sel:DWORD dst_unused:UNUSED_PAD src0_sel:WORD_0 src1_sel:DWORD
	s_waitcnt lgkmcnt(5)
	v_pk_fma_f16 v12, v68, v56, v12
	v_pk_fma_f16 v14, v69, v56, v14
	;; [unrolled: 1-line block ×4, first 2 shown]
	ds_read2_b64 v[68:71], v54 offset0:128 offset1:160
	s_waitcnt lgkmcnt(5)
	v_pk_fma_f16 v76, v72, v56, v76
	v_pk_fma_f16 v77, v73, v56, v77
	v_pk_fma_f16 v78, v74, v56, v78
	v_pk_fma_f16 v11, v75, v56, v11
	v_mul_u32_u24_sdwa v56, v57, s38 dst_sel:DWORD dst_unused:UNUSED_PAD src0_sel:WORD_1 src1_sel:DWORD
	s_waitcnt lgkmcnt(4)
	v_pk_fma_f16 v12, v19, v56, v12
	v_pk_fma_f16 v14, v20, v56, v14
	;; [unrolled: 1-line block ×4, first 2 shown]
	s_waitcnt lgkmcnt(3)
	v_pk_fma_f16 v57, v25, v56, v76
	v_pk_fma_f16 v76, v26, v56, v77
	;; [unrolled: 1-line block ×4, first 2 shown]
	v_mul_u32_u24_sdwa v56, v58, s38 dst_sel:DWORD dst_unused:UNUSED_PAD src0_sel:WORD_0 src1_sel:DWORD
	ds_read2_b64 v[72:75], v54 offset0:192 offset1:224
	ds_read2_b64 v[19:22], v55 offset1:32
	ds_read2_b64 v[25:28], v55 offset0:64 offset1:96
	s_waitcnt lgkmcnt(5)
	v_pk_fma_f16 v12, v60, v56, v12
	v_pk_fma_f16 v14, v61, v56, v14
	;; [unrolled: 1-line block ×4, first 2 shown]
	ds_read2_b64 v[60:63], v55 offset0:128 offset1:160
	s_waitcnt lgkmcnt(5)
	v_pk_fma_f16 v78, v64, v56, v57
	v_pk_fma_f16 v76, v65, v56, v76
	;; [unrolled: 1-line block ×4, first 2 shown]
	ds_read2_b64 v[64:67], v55 offset0:192 offset1:224
	s_waitcnt lgkmcnt(0)
	s_barrier
	v_mul_u32_u24_sdwa v80, v58, s38 dst_sel:DWORD dst_unused:UNUSED_PAD src0_sel:WORD_1 src1_sel:DWORD
	v_mul_u32_u24_sdwa v81, v59, s38 dst_sel:DWORD dst_unused:UNUSED_PAD src0_sel:WORD_0 src1_sel:DWORD
	v_mul_u32_u24_sdwa v82, v59, s38 dst_sel:DWORD dst_unused:UNUSED_PAD src0_sel:WORD_1 src1_sel:DWORD
	global_load_dwordx4 v[56:59], v[9:10], off
	v_pk_fma_f16 v68, v68, v80, v12
	global_load_dwordx4 v[9:12], v[9:10], off offset:512
	v_pk_fma_f16 v14, v69, v80, v14
	v_pk_fma_f16 v15, v70, v80, v15
	;; [unrolled: 1-line block ×23, first 2 shown]
	s_waitcnt vmcnt(1)
	ds_write_b128 v45, v[56:59]
	s_waitcnt vmcnt(0)
	ds_write_b128 v46, v[9:12]
	s_waitcnt lgkmcnt(0)
	s_barrier
	ds_read2_b64 v[9:12], v47 offset1:32
	ds_read2_b64 v[19:22], v47 offset0:64 offset1:96
	ds_read_b128 v[25:28], v43 offset:64
	ds_read2_b64 v[56:59], v47 offset0:128 offset1:160
	ds_read2_b64 v[60:63], v47 offset0:192 offset1:224
	ds_read2_b64 v[64:67], v53 offset1:32
	ds_read2_b64 v[68:71], v53 offset0:64 offset1:96
	ds_read2_b64 v[72:75], v53 offset0:128 offset1:160
	s_waitcnt lgkmcnt(5)
	v_mul_u32_u24_sdwa v81, v25, s38 dst_sel:DWORD dst_unused:UNUSED_PAD src0_sel:WORD_0 src1_sel:DWORD
	v_pk_fma_f16 v76, v9, v81, v76
	v_pk_fma_f16 v14, v10, v81, v14
	;; [unrolled: 1-line block ×4, first 2 shown]
	ds_read2_b64 v[9:12], v53 offset0:192 offset1:224
	v_mul_u32_u24_sdwa v25, v25, s38 dst_sel:DWORD dst_unused:UNUSED_PAD src0_sel:WORD_1 src1_sel:DWORD
	v_pk_fma_f16 v77, v19, v81, v77
	v_pk_fma_f16 v78, v20, v81, v78
	;; [unrolled: 1-line block ×4, first 2 shown]
	ds_read2_b64 v[19:22], v54 offset1:32
	s_waitcnt lgkmcnt(6)
	v_pk_fma_f16 v76, v56, v25, v76
	v_pk_fma_f16 v14, v57, v25, v14
	;; [unrolled: 1-line block ×4, first 2 shown]
	ds_read2_b64 v[56:59], v54 offset0:64 offset1:96
	s_waitcnt lgkmcnt(6)
	v_pk_fma_f16 v77, v60, v25, v77
	v_pk_fma_f16 v78, v61, v25, v78
	;; [unrolled: 1-line block ×4, first 2 shown]
	v_mul_u32_u24_sdwa v80, v26, s38 dst_sel:DWORD dst_unused:UNUSED_PAD src0_sel:WORD_0 src1_sel:DWORD
	s_waitcnt lgkmcnt(5)
	v_pk_fma_f16 v76, v64, v80, v76
	v_pk_fma_f16 v14, v65, v80, v14
	;; [unrolled: 1-line block ×4, first 2 shown]
	s_waitcnt lgkmcnt(4)
	v_pk_fma_f16 v77, v68, v80, v77
	v_pk_fma_f16 v78, v69, v80, v78
	;; [unrolled: 1-line block ×4, first 2 shown]
	v_mul_u32_u24_sdwa v81, v26, s38 dst_sel:DWORD dst_unused:UNUSED_PAD src0_sel:WORD_1 src1_sel:DWORD
	v_mul_u32_u24_sdwa v82, v27, s38 dst_sel:DWORD dst_unused:UNUSED_PAD src0_sel:WORD_0 src1_sel:DWORD
	s_waitcnt lgkmcnt(3)
	v_pk_fma_f16 v72, v72, v81, v76
	v_pk_fma_f16 v14, v73, v81, v14
	;; [unrolled: 1-line block ×4, first 2 shown]
	s_waitcnt lgkmcnt(2)
	v_pk_fma_f16 v73, v9, v81, v77
	v_pk_fma_f16 v74, v10, v81, v78
	;; [unrolled: 1-line block ×4, first 2 shown]
	ds_read2_b64 v[60:63], v54 offset0:128 offset1:160
	ds_read2_b64 v[64:67], v54 offset0:192 offset1:224
	v_mul_u32_u24_sdwa v83, v27, s38 dst_sel:DWORD dst_unused:UNUSED_PAD src0_sel:WORD_1 src1_sel:DWORD
	v_mul_u32_u24_sdwa v84, v28, s38 dst_sel:DWORD dst_unused:UNUSED_PAD src0_sel:WORD_0 src1_sel:DWORD
	v_mul_u32_u24_sdwa v85, v28, s38 dst_sel:DWORD dst_unused:UNUSED_PAD src0_sel:WORD_1 src1_sel:DWORD
	ds_read2_b64 v[25:28], v55 offset1:32
	ds_read2_b64 v[68:71], v55 offset0:64 offset1:96
	ds_read2_b64 v[9:12], v55 offset0:128 offset1:160
	s_waitcnt lgkmcnt(6)
	v_pk_fma_f16 v77, v19, v82, v72
	v_pk_fma_f16 v14, v20, v82, v14
	;; [unrolled: 1-line block ×4, first 2 shown]
	ds_read2_b64 v[19:22], v55 offset0:192 offset1:224
	s_waitcnt lgkmcnt(0)
	s_barrier
	v_pk_fma_f16 v78, v56, v82, v73
	v_pk_fma_f16 v79, v57, v82, v74
	;; [unrolled: 1-line block ×4, first 2 shown]
	global_load_dwordx4 v[56:59], v[23:24], off
	global_load_dwordx4 v[72:75], v[23:24], off offset:512
	v_pk_fma_f16 v23, v60, v83, v77
	v_pk_fma_f16 v14, v61, v83, v14
	;; [unrolled: 1-line block ×24, first 2 shown]
	s_waitcnt vmcnt(1)
	ds_write_b128 v45, v[56:59]
	s_waitcnt vmcnt(0)
	ds_write_b128 v46, v[72:75]
	s_waitcnt lgkmcnt(0)
	s_barrier
	ds_read2_b64 v[9:12], v47 offset1:32
	ds_read2_b64 v[19:22], v47 offset0:64 offset1:96
	ds_read_b128 v[23:26], v43 offset:80
	ds_read2_b64 v[56:59], v47 offset0:128 offset1:160
	ds_read2_b64 v[60:63], v47 offset0:192 offset1:224
	ds_read2_b64 v[64:67], v53 offset1:32
	ds_read2_b64 v[68:71], v53 offset0:64 offset1:96
	ds_read2_b64 v[72:75], v53 offset0:128 offset1:160
	s_waitcnt lgkmcnt(5)
	v_mul_u32_u24_sdwa v79, v23, s38 dst_sel:DWORD dst_unused:UNUSED_PAD src0_sel:WORD_0 src1_sel:DWORD
	v_pk_fma_f16 v28, v9, v79, v28
	v_pk_fma_f16 v14, v10, v79, v14
	;; [unrolled: 1-line block ×4, first 2 shown]
	ds_read2_b64 v[9:12], v53 offset0:192 offset1:224
	v_mul_u32_u24_sdwa v23, v23, s38 dst_sel:DWORD dst_unused:UNUSED_PAD src0_sel:WORD_1 src1_sel:DWORD
	v_pk_fma_f16 v76, v19, v79, v76
	v_pk_fma_f16 v77, v20, v79, v77
	;; [unrolled: 1-line block ×4, first 2 shown]
	ds_read2_b64 v[19:22], v54 offset1:32
	s_waitcnt lgkmcnt(6)
	v_pk_fma_f16 v28, v56, v23, v28
	v_pk_fma_f16 v14, v57, v23, v14
	;; [unrolled: 1-line block ×4, first 2 shown]
	ds_read2_b64 v[56:59], v54 offset0:64 offset1:96
	s_waitcnt lgkmcnt(6)
	v_pk_fma_f16 v76, v60, v23, v76
	v_pk_fma_f16 v77, v61, v23, v77
	;; [unrolled: 1-line block ×4, first 2 shown]
	v_mul_u32_u24_sdwa v27, v24, s38 dst_sel:DWORD dst_unused:UNUSED_PAD src0_sel:WORD_0 src1_sel:DWORD
	s_waitcnt lgkmcnt(5)
	v_pk_fma_f16 v28, v64, v27, v28
	v_pk_fma_f16 v14, v65, v27, v14
	;; [unrolled: 1-line block ×4, first 2 shown]
	s_waitcnt lgkmcnt(4)
	v_pk_fma_f16 v76, v68, v27, v76
	v_pk_fma_f16 v77, v69, v27, v77
	;; [unrolled: 1-line block ×4, first 2 shown]
	v_mul_u32_u24_sdwa v24, v24, s38 dst_sel:DWORD dst_unused:UNUSED_PAD src0_sel:WORD_1 src1_sel:DWORD
	s_waitcnt lgkmcnt(3)
	v_pk_fma_f16 v27, v72, v24, v28
	v_pk_fma_f16 v14, v73, v24, v14
	;; [unrolled: 1-line block ×4, first 2 shown]
	s_waitcnt lgkmcnt(2)
	v_pk_fma_f16 v28, v9, v24, v76
	v_pk_fma_f16 v76, v10, v24, v77
	;; [unrolled: 1-line block ×4, first 2 shown]
	v_mul_u32_u24_sdwa v24, v25, s38 dst_sel:DWORD dst_unused:UNUSED_PAD src0_sel:WORD_0 src1_sel:DWORD
	ds_read2_b64 v[60:63], v54 offset0:128 offset1:160
	ds_read2_b64 v[64:67], v54 offset0:192 offset1:224
	ds_read2_b64 v[68:71], v55 offset1:32
	ds_read2_b64 v[72:75], v55 offset0:64 offset1:96
	ds_read2_b64 v[9:12], v55 offset0:128 offset1:160
	s_waitcnt lgkmcnt(6)
	v_pk_fma_f16 v27, v19, v24, v27
	v_pk_fma_f16 v14, v20, v24, v14
	;; [unrolled: 1-line block ×4, first 2 shown]
	ds_read2_b64 v[19:22], v55 offset0:192 offset1:224
	s_waitcnt lgkmcnt(0)
	s_barrier
	v_pk_fma_f16 v28, v56, v24, v28
	v_pk_fma_f16 v76, v57, v24, v76
	;; [unrolled: 1-line block ×4, first 2 shown]
	global_load_dwordx4 v[56:59], v[7:8], off
	v_mul_u32_u24_sdwa v79, v25, s38 dst_sel:DWORD dst_unused:UNUSED_PAD src0_sel:WORD_1 src1_sel:DWORD
	v_mul_u32_u24_sdwa v80, v26, s38 dst_sel:DWORD dst_unused:UNUSED_PAD src0_sel:WORD_0 src1_sel:DWORD
	v_mul_u32_u24_sdwa v81, v26, s38 dst_sel:DWORD dst_unused:UNUSED_PAD src0_sel:WORD_1 src1_sel:DWORD
	global_load_dwordx4 v[23:26], v[7:8], off offset:512
	v_pk_fma_f16 v7, v60, v79, v27
	v_pk_fma_f16 v8, v61, v79, v14
	;; [unrolled: 1-line block ×24, first 2 shown]
	s_waitcnt vmcnt(1)
	ds_write_b128 v45, v[56:59]
	s_waitcnt vmcnt(0)
	ds_write_b128 v46, v[23:26]
	s_waitcnt lgkmcnt(0)
	s_barrier
	ds_read2_b64 v[7:10], v47 offset1:32
	ds_read2_b64 v[19:22], v47 offset0:64 offset1:96
	ds_read_b128 v[23:26], v43 offset:96
	ds_read2_b64 v[56:59], v47 offset0:128 offset1:160
	ds_read2_b64 v[60:63], v47 offset0:192 offset1:224
	ds_read2_b64 v[64:67], v53 offset1:32
	ds_read2_b64 v[68:71], v53 offset0:64 offset1:96
	ds_read2_b64 v[72:75], v53 offset0:128 offset1:160
	;; [unrolled: 1-line block ×3, first 2 shown]
	s_waitcnt lgkmcnt(6)
	v_mul_u32_u24_sdwa v28, v23, s38 dst_sel:DWORD dst_unused:UNUSED_PAD src0_sel:WORD_0 src1_sel:DWORD
	v_pk_fma_f16 v80, v7, v28, v80
	v_pk_fma_f16 v81, v8, v28, v82
	;; [unrolled: 1-line block ×4, first 2 shown]
	ds_read2_b64 v[7:10], v54 offset1:32
	v_pk_fma_f16 v14, v19, v28, v14
	v_pk_fma_f16 v15, v20, v28, v15
	;; [unrolled: 1-line block ×4, first 2 shown]
	ds_read2_b64 v[19:22], v54 offset0:64 offset1:96
	v_mul_u32_u24_sdwa v23, v23, s38 dst_sel:DWORD dst_unused:UNUSED_PAD src0_sel:WORD_1 src1_sel:DWORD
	s_waitcnt lgkmcnt(7)
	v_pk_fma_f16 v28, v56, v23, v80
	v_pk_fma_f16 v80, v57, v23, v81
	;; [unrolled: 1-line block ×4, first 2 shown]
	s_waitcnt lgkmcnt(6)
	v_pk_fma_f16 v14, v60, v23, v14
	v_pk_fma_f16 v15, v61, v23, v15
	;; [unrolled: 1-line block ×4, first 2 shown]
	v_mul_u32_u24_sdwa v27, v24, s38 dst_sel:DWORD dst_unused:UNUSED_PAD src0_sel:WORD_0 src1_sel:DWORD
	s_waitcnt lgkmcnt(5)
	v_pk_fma_f16 v28, v64, v27, v28
	v_pk_fma_f16 v80, v65, v27, v80
	;; [unrolled: 1-line block ×4, first 2 shown]
	s_waitcnt lgkmcnt(4)
	v_pk_fma_f16 v14, v68, v27, v14
	v_pk_fma_f16 v15, v69, v27, v15
	v_pk_fma_f16 v16, v70, v27, v16
	v_pk_fma_f16 v23, v71, v27, v23
	v_mul_u32_u24_sdwa v24, v24, s38 dst_sel:DWORD dst_unused:UNUSED_PAD src0_sel:WORD_1 src1_sel:DWORD
	s_waitcnt lgkmcnt(3)
	v_pk_fma_f16 v27, v72, v24, v28
	v_pk_fma_f16 v28, v73, v24, v80
	;; [unrolled: 1-line block ×4, first 2 shown]
	s_waitcnt lgkmcnt(2)
	v_pk_fma_f16 v14, v76, v24, v14
	v_pk_fma_f16 v15, v77, v24, v15
	;; [unrolled: 1-line block ×4, first 2 shown]
	v_mul_u32_u24_sdwa v24, v25, s38 dst_sel:DWORD dst_unused:UNUSED_PAD src0_sel:WORD_0 src1_sel:DWORD
	ds_read2_b64 v[56:59], v54 offset0:128 offset1:160
	ds_read2_b64 v[60:63], v54 offset0:192 offset1:224
	ds_read2_b64 v[64:67], v55 offset1:32
	ds_read2_b64 v[68:71], v55 offset0:64 offset1:96
	ds_read2_b64 v[72:75], v55 offset0:128 offset1:160
	;; [unrolled: 1-line block ×3, first 2 shown]
	s_waitcnt lgkmcnt(0)
	s_barrier
	v_pk_fma_f16 v27, v7, v24, v27
	v_pk_fma_f16 v28, v8, v24, v28
	;; [unrolled: 1-line block ×4, first 2 shown]
	global_load_dwordx4 v[7:10], v[17:18], off
	v_pk_fma_f16 v19, v19, v24, v14
	v_pk_fma_f16 v20, v20, v24, v15
	;; [unrolled: 1-line block ×3, first 2 shown]
	global_load_dwordx4 v[14:17], v[17:18], off offset:512
	v_pk_fma_f16 v22, v22, v24, v23
	v_mul_u32_u24_sdwa v18, v25, s38 dst_sel:DWORD dst_unused:UNUSED_PAD src0_sel:WORD_1 src1_sel:DWORD
	v_mul_u32_u24_sdwa v23, v26, s38 dst_sel:DWORD dst_unused:UNUSED_PAD src0_sel:WORD_0 src1_sel:DWORD
	v_mul_u32_u24_sdwa v24, v26, s38 dst_sel:DWORD dst_unused:UNUSED_PAD src0_sel:WORD_1 src1_sel:DWORD
	v_pk_fma_f16 v25, v56, v18, v27
	v_pk_fma_f16 v26, v57, v18, v28
	;; [unrolled: 1-line block ×24, first 2 shown]
	s_waitcnt vmcnt(1)
	ds_write_b128 v45, v[7:10]
	s_waitcnt vmcnt(0)
	ds_write_b128 v46, v[14:17]
	s_waitcnt lgkmcnt(0)
	s_barrier
	ds_read2_b64 v[7:10], v47 offset1:32
	ds_read2_b64 v[14:17], v47 offset0:64 offset1:96
	ds_read_b128 v[18:21], v43 offset:112
	ds_read2_b64 v[22:25], v47 offset0:128 offset1:160
	ds_read2_b64 v[56:59], v47 offset0:192 offset1:224
	ds_read2_b64 v[60:63], v53 offset1:32
	ds_read2_b64 v[64:67], v53 offset0:64 offset1:96
	ds_read2_b64 v[68:71], v53 offset0:128 offset1:160
	;; [unrolled: 1-line block ×3, first 2 shown]
	s_waitcnt lgkmcnt(6)
	v_mul_u32_u24_sdwa v79, v18, s38 dst_sel:DWORD dst_unused:UNUSED_PAD src0_sel:WORD_0 src1_sel:DWORD
	v_pk_fma_f16 v26, v7, v79, v26
	v_pk_fma_f16 v27, v8, v79, v27
	;; [unrolled: 1-line block ×8, first 2 shown]
	v_mul_u32_u24_sdwa v18, v18, s38 dst_sel:DWORD dst_unused:UNUSED_PAD src0_sel:WORD_1 src1_sel:DWORD
	s_waitcnt lgkmcnt(5)
	v_pk_fma_f16 v26, v22, v18, v26
	v_pk_fma_f16 v27, v23, v18, v27
	;; [unrolled: 1-line block ×4, first 2 shown]
	s_waitcnt lgkmcnt(4)
	v_pk_fma_f16 v28, v56, v18, v28
	v_pk_fma_f16 v76, v57, v18, v76
	v_pk_fma_f16 v77, v58, v18, v77
	v_pk_fma_f16 v18, v59, v18, v78
	v_mul_u32_u24_sdwa v78, v19, s38 dst_sel:DWORD dst_unused:UNUSED_PAD src0_sel:WORD_0 src1_sel:DWORD
	ds_read2_b64 v[7:10], v54 offset1:32
	ds_read2_b64 v[14:17], v54 offset0:64 offset1:96
	s_waitcnt lgkmcnt(5)
	v_pk_fma_f16 v26, v60, v78, v26
	v_pk_fma_f16 v27, v61, v78, v27
	;; [unrolled: 1-line block ×4, first 2 shown]
	s_waitcnt lgkmcnt(4)
	v_pk_fma_f16 v28, v64, v78, v28
	v_pk_fma_f16 v76, v65, v78, v76
	v_pk_fma_f16 v77, v66, v78, v77
	v_pk_fma_f16 v18, v67, v78, v18
	v_mul_u32_u24_sdwa v19, v19, s38 dst_sel:DWORD dst_unused:UNUSED_PAD src0_sel:WORD_1 src1_sel:DWORD
	ds_read2_b64 v[22:25], v54 offset0:128 offset1:160
	ds_read2_b64 v[56:59], v54 offset0:192 offset1:224
	ds_read2_b64 v[60:63], v55 offset1:32
	ds_read2_b64 v[64:67], v55 offset0:64 offset1:96
	s_waitcnt lgkmcnt(7)
	v_pk_fma_f16 v26, v68, v19, v26
	v_pk_fma_f16 v27, v69, v19, v27
	;; [unrolled: 1-line block ×4, first 2 shown]
	ds_read2_b64 v[68:71], v55 offset0:128 offset1:160
	s_waitcnt lgkmcnt(7)
	v_pk_fma_f16 v28, v72, v19, v28
	v_pk_fma_f16 v76, v73, v19, v76
	;; [unrolled: 1-line block ×4, first 2 shown]
	ds_read2_b64 v[72:75], v55 offset0:192 offset1:224
	s_waitcnt lgkmcnt(0)
	s_barrier
	s_load_dword s0, s[12:13], 0x4
	v_mul_u32_u24_sdwa v19, v20, s38 dst_sel:DWORD dst_unused:UNUSED_PAD src0_sel:WORD_0 src1_sel:DWORD
	v_mul_u32_u24_sdwa v20, v20, s38 dst_sel:DWORD dst_unused:UNUSED_PAD src0_sel:WORD_1 src1_sel:DWORD
	v_pk_fma_f16 v7, v7, v19, v26
	v_pk_fma_f16 v8, v8, v19, v27
	v_pk_fma_f16 v9, v9, v19, v11
	v_pk_fma_f16 v10, v10, v19, v12
	v_pk_fma_f16 v11, v14, v19, v28
	v_pk_fma_f16 v12, v15, v19, v76
	v_pk_fma_f16 v14, v16, v19, v77
	v_pk_fma_f16 v15, v17, v19, v18
	v_mul_u32_u24_sdwa v78, v21, s38 dst_sel:DWORD dst_unused:UNUSED_PAD src0_sel:WORD_0 src1_sel:DWORD
	s_waitcnt lgkmcnt(0)
	s_lshl_b32 s0, s0, 6
	v_pk_fma_f16 v7, v22, v20, v7
	v_pk_fma_f16 v8, v23, v20, v8
	;; [unrolled: 1-line block ×8, first 2 shown]
	v_mul_u32_u24_sdwa v21, v21, s38 dst_sel:DWORD dst_unused:UNUSED_PAD src0_sel:WORD_1 src1_sel:DWORD
	s_add_i32 s6, s0, s6
	v_pk_fma_f16 v7, v60, v78, v7
	v_pk_fma_f16 v8, v61, v78, v8
	;; [unrolled: 1-line block ×8, first 2 shown]
	s_cmp_ge_i32 s6, s28
	v_pk_fma_f16 v62, v68, v21, v7
	v_pk_fma_f16 v63, v69, v21, v8
	;; [unrolled: 1-line block ×8, first 2 shown]
	s_cbranch_scc0 .LBB17_11
.LBB17_12:
	v_cmp_lt_i32_e32 vcc, v39, v34
	v_cndmask_b32_e32 v2, v33, v39, vcc
	v_lshlrev_b32_e32 v2, 2, v2
	ds_bpermute_b32 v2, v2, v13
	v_cmp_lt_i32_e32 vcc, v38, v34
	v_cndmask_b32_e32 v3, v33, v38, vcc
	v_lshlrev_b32_e32 v3, 2, v3
	v_cmp_lt_i32_e32 vcc, v37, v34
	s_waitcnt lgkmcnt(0)
	v_add_f32_e32 v2, v13, v2
	ds_bpermute_b32 v3, v3, v2
	v_cndmask_b32_e32 v4, v33, v37, vcc
	v_lshlrev_b32_e32 v4, 2, v4
	v_cmp_lt_i32_e32 vcc, v36, v34
	s_cmp_lg_u64 s[16:17], 0
	s_waitcnt lgkmcnt(0)
	v_add_f32_e32 v2, v2, v3
	ds_bpermute_b32 v3, v4, v2
	v_cndmask_b32_e32 v4, v33, v36, vcc
	v_lshlrev_b32_e32 v4, 2, v4
	v_cmp_lt_i32_e32 vcc, v35, v34
	s_cselect_b64 s[0:1], -1, 0
	s_waitcnt lgkmcnt(0)
	v_add_f32_e32 v2, v2, v3
	ds_bpermute_b32 v3, v4, v2
	v_cndmask_b32_e32 v4, v33, v35, vcc
	v_lshlrev_b32_e32 v4, 2, v4
	s_cmp_eq_u32 s7, 0
	s_cselect_b64 s[2:3], -1, 0
	s_waitcnt lgkmcnt(0)
	v_add_f32_e32 v2, v2, v3
	ds_bpermute_b32 v3, v4, v2
	s_and_b64 s[0:1], s[2:3], s[0:1]
	s_and_b64 vcc, exec, s[0:1]
	s_waitcnt lgkmcnt(0)
	v_add_f32_e32 v2, v2, v3
	s_cbranch_vccz .LBB17_14
; %bb.13:
	v_add_u32_e32 v3, s29, v29
	v_ashrrev_i32_e32 v4, 31, v3
	v_lshlrev_b64 v[3:4], 2, v[3:4]
	v_mov_b32_e32 v5, s17
	v_add_co_u32_e32 v3, vcc, s16, v3
	v_addc_co_u32_e32 v4, vcc, v5, v4, vcc
	global_load_dword v3, v[3:4], off
	v_max_f32_e32 v4, v1, v1
	s_mov_b32 s0, 0x3fb8aa3b
	s_mov_b32 s1, 0xc2ce8ed0
	s_waitcnt vmcnt(0)
	v_max_f32_e32 v5, v3, v3
	v_max_f32_e32 v4, v4, v5
	v_sub_f32_e32 v1, v1, v4
	v_sub_f32_e32 v3, v3, v4
	v_mul_f32_e32 v5, 0x3fb8aa3b, v1
	v_mul_f32_e32 v6, 0x3fb8aa3b, v3
	v_fma_f32 v7, v1, s0, -v5
	v_rndne_f32_e32 v8, v5
	v_fma_f32 v9, v3, s0, -v6
	v_rndne_f32_e32 v10, v6
	v_fmac_f32_e32 v7, 0x32a5705f, v1
	v_sub_f32_e32 v5, v5, v8
	v_fmac_f32_e32 v9, 0x32a5705f, v3
	v_sub_f32_e32 v6, v6, v10
	v_add_f32_e32 v5, v5, v7
	v_cvt_i32_f32_e32 v8, v8
	v_add_f32_e32 v6, v6, v9
	v_exp_f32_e32 v5, v5
	v_cvt_i32_f32_e32 v10, v10
	v_exp_f32_e32 v6, v6
	v_cmp_ngt_f32_e32 vcc, s1, v1
	v_ldexp_f32 v5, v5, v8
	s_mov_b32 s0, 0x42b17218
	v_ldexp_f32 v6, v6, v10
	v_cndmask_b32_e32 v5, 0, v5, vcc
	v_cmp_ngt_f32_e32 vcc, s1, v3
	v_mov_b32_e32 v7, 0x7f800000
	v_cndmask_b32_e32 v6, 0, v6, vcc
	v_cmp_nlt_f32_e32 vcc, s0, v1
	v_cndmask_b32_e32 v1, v7, v5, vcc
	v_cvt_f16_f32_e32 v5, v1
	v_cmp_nlt_f32_e32 vcc, s0, v3
	v_cndmask_b32_e32 v3, v7, v6, vcc
	v_fmac_f32_e32 v3, v2, v1
	v_mul_u32_u24_e32 v1, 0x10001, v5
	v_mov_b32_e32 v2, v3
	v_pk_mul_f16 v62, v62, v1
	v_pk_mul_f16 v63, v63, v1
	;; [unrolled: 1-line block ×8, first 2 shown]
	v_mov_b32_e32 v1, v4
.LBB17_14:
	v_cmp_gt_i32_e32 vcc, s26, v30
	s_and_saveexec_b64 s[0:1], vcc
	s_cbranch_execz .LBB17_17
; %bb.15:
	v_div_scale_f32 v3, s[0:1], v2, v2, 1.0
	v_div_scale_f32 v4, vcc, 1.0, v2, 1.0
	s_mul_i32 s33, s33, s26
	v_add_u32_e32 v7, s33, v30
	s_load_dword s2, s[4:5], 0xd4
	v_mul_lo_u32 v7, v7, s27
	v_cmp_eq_u32_e64 s[0:1], 0, v0
	v_cvt_f32_f16_sdwa v0, v63 dst_sel:DWORD dst_unused:UNUSED_PAD src0_sel:WORD_1
	v_cvt_f32_f16_e32 v6, v63
	v_cvt_f32_f16_sdwa v12, v62 dst_sel:DWORD dst_unused:UNUSED_PAD src0_sel:WORD_1
	v_cvt_f32_f16_e32 v13, v62
	s_waitcnt lgkmcnt(0)
	s_cmp_lg_u32 s2, 1
	v_mov_b32_e32 v11, s21
	v_cvt_f32_f16_sdwa v15, v61 dst_sel:DWORD dst_unused:UNUSED_PAD src0_sel:WORD_1
	v_rcp_f32_e32 v5, v3
	v_cvt_f32_f16_e32 v16, v61
	v_cvt_f32_f16_sdwa v17, v60 dst_sel:DWORD dst_unused:UNUSED_PAD src0_sel:WORD_1
	v_fma_f32 v8, -v3, v5, 1.0
	v_fmac_f32_e32 v5, v8, v5
	v_mul_f32_e32 v8, v4, v5
	v_fma_f32 v9, -v3, v8, v4
	v_fmac_f32_e32 v8, v9, v5
	v_fma_f32 v3, -v3, v8, v4
	v_div_fmas_f32 v14, v3, v5, v8
	v_add3_u32 v3, s29, v29, v7
	v_mul_lo_u32 v3, s2, v3
	v_mov_b32_e32 v9, 0
	s_cselect_b64 s[2:3], -1, 0
	s_and_b64 s[0:1], s[0:1], s[2:3]
	v_add_u32_e32 v3, s7, v3
	v_lshl_add_u32 v8, v3, 9, v31
	v_lshlrev_b64 v[4:5], 2, v[8:9]
	v_add_co_u32_e32 v10, vcc, s20, v4
	v_addc_co_u32_e32 v11, vcc, v11, v5, vcc
	v_div_fixup_f32 v4, v14, v2, 1.0
	v_cndmask_b32_e64 v14, v4, 1.0, s[2:3]
	v_mul_f32_e32 v7, v14, v0
	v_mul_f32_e32 v6, v14, v6
	;; [unrolled: 1-line block ×4, first 2 shown]
	v_cvt_f32_f16_e32 v0, v60
	global_store_dwordx4 v[10:11], v[4:7], off
	v_add_u32_e32 v10, 0x80, v8
	v_mov_b32_e32 v11, v9
	v_lshlrev_b64 v[10:11], 2, v[10:11]
	v_mul_f32_e32 v4, v14, v0
	v_mov_b32_e32 v0, s21
	v_add_co_u32_e32 v10, vcc, s20, v10
	v_mul_f32_e32 v7, v14, v15
	v_mul_f32_e32 v6, v14, v16
	;; [unrolled: 1-line block ×3, first 2 shown]
	v_addc_co_u32_e32 v11, vcc, v0, v11, vcc
	global_store_dwordx4 v[10:11], v[4:7], off
	v_cvt_f32_f16_e32 v10, v58
	v_cvt_f32_f16_e32 v4, v59
	v_cvt_f32_f16_sdwa v0, v59 dst_sel:DWORD dst_unused:UNUSED_PAD src0_sel:WORD_1
	v_cvt_f32_f16_sdwa v5, v58 dst_sel:DWORD dst_unused:UNUSED_PAD src0_sel:WORD_1
	v_mov_b32_e32 v11, v9
	v_mul_f32_e32 v6, v14, v4
	v_mul_f32_e32 v4, v14, v10
	v_add_u32_e32 v10, 0x100, v8
	v_lshlrev_b64 v[10:11], 2, v[10:11]
	v_mul_f32_e32 v7, v14, v0
	v_mov_b32_e32 v0, s21
	v_add_co_u32_e32 v10, vcc, s20, v10
	v_mul_f32_e32 v5, v14, v5
	v_addc_co_u32_e32 v11, vcc, v0, v11, vcc
	v_cvt_f32_f16_sdwa v0, v56 dst_sel:DWORD dst_unused:UNUSED_PAD src0_sel:WORD_1
	global_store_dwordx4 v[10:11], v[4:7], off
	v_cvt_f32_f16_e32 v10, v57
	v_cvt_f32_f16_e32 v4, v56
	v_cvt_f32_f16_sdwa v5, v57 dst_sel:DWORD dst_unused:UNUSED_PAD src0_sel:WORD_1
	v_add_u32_e32 v8, 0x180, v8
	v_lshlrev_b64 v[8:9], 2, v[8:9]
	v_mul_f32_e32 v7, v14, v0
	v_mov_b32_e32 v0, s21
	v_add_co_u32_e32 v8, vcc, s20, v8
	v_mul_f32_e32 v6, v14, v4
	v_mul_f32_e32 v5, v14, v5
	;; [unrolled: 1-line block ×3, first 2 shown]
	v_addc_co_u32_e32 v9, vcc, v0, v9, vcc
	global_store_dwordx4 v[8:9], v[4:7], off
	s_and_b64 exec, exec, s[0:1]
	s_cbranch_execz .LBB17_17
; %bb.16:
	v_ashrrev_i32_e32 v4, 31, v3
	v_lshlrev_b64 v[3:4], 3, v[3:4]
	v_mov_b32_e32 v0, s23
	v_add_co_u32_e32 v3, vcc, s22, v3
	v_addc_co_u32_e32 v4, vcc, v0, v4, vcc
	global_store_dwordx2 v[3:4], v[1:2], off
.LBB17_17:
	s_endpgm
	.section	.rodata,"a",@progbits
	.p2align	6, 0x0
	.amdhsa_kernel _ZL15flash_attn_tileILi576ELi512ELi2ELi4ELb0EEvPKcS1_S1_S1_S1_PKiPfP15HIP_vector_typeIfLj2EEffffjfiS5_IjLj3EEiiiiiiiiiiiliiliiiiil
		.amdhsa_group_segment_fixed_size 19456
		.amdhsa_private_segment_fixed_size 0
		.amdhsa_kernarg_size 464
		.amdhsa_user_sgpr_count 6
		.amdhsa_user_sgpr_private_segment_buffer 1
		.amdhsa_user_sgpr_dispatch_ptr 0
		.amdhsa_user_sgpr_queue_ptr 0
		.amdhsa_user_sgpr_kernarg_segment_ptr 1
		.amdhsa_user_sgpr_dispatch_id 0
		.amdhsa_user_sgpr_flat_scratch_init 0
		.amdhsa_user_sgpr_private_segment_size 0
		.amdhsa_uses_dynamic_stack 0
		.amdhsa_system_sgpr_private_segment_wavefront_offset 0
		.amdhsa_system_sgpr_workgroup_id_x 1
		.amdhsa_system_sgpr_workgroup_id_y 1
		.amdhsa_system_sgpr_workgroup_id_z 1
		.amdhsa_system_sgpr_workgroup_info 0
		.amdhsa_system_vgpr_workitem_id 1
		.amdhsa_next_free_vgpr 86
		.amdhsa_next_free_sgpr 98
		.amdhsa_reserve_vcc 1
		.amdhsa_reserve_flat_scratch 0
		.amdhsa_float_round_mode_32 0
		.amdhsa_float_round_mode_16_64 0
		.amdhsa_float_denorm_mode_32 3
		.amdhsa_float_denorm_mode_16_64 3
		.amdhsa_dx10_clamp 1
		.amdhsa_ieee_mode 1
		.amdhsa_fp16_overflow 0
		.amdhsa_exception_fp_ieee_invalid_op 0
		.amdhsa_exception_fp_denorm_src 0
		.amdhsa_exception_fp_ieee_div_zero 0
		.amdhsa_exception_fp_ieee_overflow 0
		.amdhsa_exception_fp_ieee_underflow 0
		.amdhsa_exception_fp_ieee_inexact 0
		.amdhsa_exception_int_div_zero 0
	.end_amdhsa_kernel
	.section	.text._ZL15flash_attn_tileILi576ELi512ELi2ELi4ELb0EEvPKcS1_S1_S1_S1_PKiPfP15HIP_vector_typeIfLj2EEffffjfiS5_IjLj3EEiiiiiiiiiiiliiliiiiil,"axG",@progbits,_ZL15flash_attn_tileILi576ELi512ELi2ELi4ELb0EEvPKcS1_S1_S1_S1_PKiPfP15HIP_vector_typeIfLj2EEffffjfiS5_IjLj3EEiiiiiiiiiiiliiliiiiil,comdat
.Lfunc_end17:
	.size	_ZL15flash_attn_tileILi576ELi512ELi2ELi4ELb0EEvPKcS1_S1_S1_S1_PKiPfP15HIP_vector_typeIfLj2EEffffjfiS5_IjLj3EEiiiiiiiiiiiliiliiiiil, .Lfunc_end17-_ZL15flash_attn_tileILi576ELi512ELi2ELi4ELb0EEvPKcS1_S1_S1_S1_PKiPfP15HIP_vector_typeIfLj2EEffffjfiS5_IjLj3EEiiiiiiiiiiiliiliiiiil
                                        ; -- End function
	.set _ZL15flash_attn_tileILi576ELi512ELi2ELi4ELb0EEvPKcS1_S1_S1_S1_PKiPfP15HIP_vector_typeIfLj2EEffffjfiS5_IjLj3EEiiiiiiiiiiiliiliiiiil.num_vgpr, 86
	.set _ZL15flash_attn_tileILi576ELi512ELi2ELi4ELb0EEvPKcS1_S1_S1_S1_PKiPfP15HIP_vector_typeIfLj2EEffffjfiS5_IjLj3EEiiiiiiiiiiiliiliiiiil.num_agpr, 0
	.set _ZL15flash_attn_tileILi576ELi512ELi2ELi4ELb0EEvPKcS1_S1_S1_S1_PKiPfP15HIP_vector_typeIfLj2EEffffjfiS5_IjLj3EEiiiiiiiiiiiliiliiiiil.numbered_sgpr, 52
	.set _ZL15flash_attn_tileILi576ELi512ELi2ELi4ELb0EEvPKcS1_S1_S1_S1_PKiPfP15HIP_vector_typeIfLj2EEffffjfiS5_IjLj3EEiiiiiiiiiiiliiliiiiil.num_named_barrier, 0
	.set _ZL15flash_attn_tileILi576ELi512ELi2ELi4ELb0EEvPKcS1_S1_S1_S1_PKiPfP15HIP_vector_typeIfLj2EEffffjfiS5_IjLj3EEiiiiiiiiiiiliiliiiiil.private_seg_size, 0
	.set _ZL15flash_attn_tileILi576ELi512ELi2ELi4ELb0EEvPKcS1_S1_S1_S1_PKiPfP15HIP_vector_typeIfLj2EEffffjfiS5_IjLj3EEiiiiiiiiiiiliiliiiiil.uses_vcc, 1
	.set _ZL15flash_attn_tileILi576ELi512ELi2ELi4ELb0EEvPKcS1_S1_S1_S1_PKiPfP15HIP_vector_typeIfLj2EEffffjfiS5_IjLj3EEiiiiiiiiiiiliiliiiiil.uses_flat_scratch, 0
	.set _ZL15flash_attn_tileILi576ELi512ELi2ELi4ELb0EEvPKcS1_S1_S1_S1_PKiPfP15HIP_vector_typeIfLj2EEffffjfiS5_IjLj3EEiiiiiiiiiiiliiliiiiil.has_dyn_sized_stack, 0
	.set _ZL15flash_attn_tileILi576ELi512ELi2ELi4ELb0EEvPKcS1_S1_S1_S1_PKiPfP15HIP_vector_typeIfLj2EEffffjfiS5_IjLj3EEiiiiiiiiiiiliiliiiiil.has_recursion, 0
	.set _ZL15flash_attn_tileILi576ELi512ELi2ELi4ELb0EEvPKcS1_S1_S1_S1_PKiPfP15HIP_vector_typeIfLj2EEffffjfiS5_IjLj3EEiiiiiiiiiiiliiliiiiil.has_indirect_call, 0
	.section	.AMDGPU.csdata,"",@progbits
; Kernel info:
; codeLenInByte = 17748
; TotalNumSgprs: 56
; NumVgprs: 86
; ScratchSize: 0
; MemoryBound: 0
; FloatMode: 240
; IeeeMode: 1
; LDSByteSize: 19456 bytes/workgroup (compile time only)
; SGPRBlocks: 12
; VGPRBlocks: 21
; NumSGPRsForWavesPerEU: 102
; NumVGPRsForWavesPerEU: 86
; Occupancy: 2
; WaveLimiterHint : 1
; COMPUTE_PGM_RSRC2:SCRATCH_EN: 0
; COMPUTE_PGM_RSRC2:USER_SGPR: 6
; COMPUTE_PGM_RSRC2:TRAP_HANDLER: 0
; COMPUTE_PGM_RSRC2:TGID_X_EN: 1
; COMPUTE_PGM_RSRC2:TGID_Y_EN: 1
; COMPUTE_PGM_RSRC2:TGID_Z_EN: 1
; COMPUTE_PGM_RSRC2:TIDIG_COMP_CNT: 1
	.section	.text._ZL33flash_attn_stream_k_fixup_uniformILi512ELi2ELi4EEvPfPK15HIP_vector_typeIfLj2EEiiiiiiS1_IjLj3EES5_S5_,"axG",@progbits,_ZL33flash_attn_stream_k_fixup_uniformILi512ELi2ELi4EEvPfPK15HIP_vector_typeIfLj2EEiiiiiiS1_IjLj3EES5_S5_,comdat
	.globl	_ZL33flash_attn_stream_k_fixup_uniformILi512ELi2ELi4EEvPfPK15HIP_vector_typeIfLj2EEiiiiiiS1_IjLj3EES5_S5_ ; -- Begin function _ZL33flash_attn_stream_k_fixup_uniformILi512ELi2ELi4EEvPfPK15HIP_vector_typeIfLj2EEiiiiiiS1_IjLj3EES5_S5_
	.p2align	8
	.type	_ZL33flash_attn_stream_k_fixup_uniformILi512ELi2ELi4EEvPfPK15HIP_vector_typeIfLj2EEiiiiiiS1_IjLj3EES5_S5_,@function
_ZL33flash_attn_stream_k_fixup_uniformILi512ELi2ELi4EEvPfPK15HIP_vector_typeIfLj2EEiiiiiiS1_IjLj3EES5_S5_: ; @_ZL33flash_attn_stream_k_fixup_uniformILi512ELi2ELi4EEvPfPK15HIP_vector_typeIfLj2EEiiiiiiS1_IjLj3EES5_S5_
; %bb.0:
	s_load_dwordx8 s[12:19], s[4:5], 0x1c
	s_load_dwordx2 s[10:11], s[4:5], 0x10
	s_load_dwordx4 s[0:3], s[4:5], 0x3c
	s_waitcnt lgkmcnt(0)
	s_mul_hi_u32 s9, s15, s6
	s_add_i32 s9, s6, s9
	s_lshr_b32 s9, s9, s16
	s_mul_i32 s15, s9, s17
	s_sub_i32 s15, s6, s15
	s_mul_hi_u32 s16, s15, s18
	s_add_i32 s16, s15, s16
	s_lshr_b32 s16, s16, s19
	s_mul_i32 s0, s16, s0
	s_sub_i32 s0, s15, s0
	;; [unrolled: 5-line block ×3, first 2 shown]
	s_lshl_b32 s0, s17, 1
	s_lshl_b32 s15, s1, 2
	s_add_i32 s0, s0, s7
	s_cmp_lt_i32 s0, s10
	s_cselect_b64 s[0:1], -1, 0
	s_add_i32 s2, s15, s8
	s_cmp_lt_i32 s2, s13
	s_cselect_b64 s[2:3], -1, 0
	s_and_b64 s[0:1], s[0:1], s[2:3]
	s_andn2_b64 vcc, exec, s[0:1]
	s_cbranch_vccnz .LBB18_6
; %bb.1:
	s_load_dwordx4 s[0:3], s[4:5], 0x0
	s_mul_i32 s4, s9, s10
	s_add_i32 s4, s4, s7
	s_mul_i32 s4, s4, s11
	s_mul_i32 s16, s16, s13
	s_add_i32 s4, s4, s8
	s_add_i32 s4, s4, s16
	s_mul_i32 s5, s11, s17
	s_add_i32 s4, s4, s15
	s_lshl_b32 s5, s5, 10
	s_lshl_b32 s4, s4, 9
	s_add_i32 s5, s5, s4
	v_or_b32_e32 v1, s5, v0
	v_ashrrev_i32_e32 v2, 31, v1
	v_lshlrev_b64 v[1:2], 2, v[1:2]
	s_waitcnt lgkmcnt(0)
	v_mov_b32_e32 v3, s1
	v_add_co_u32_e32 v1, vcc, s0, v1
	v_addc_co_u32_e32 v2, vcc, v3, v2, vcc
	global_load_dword v8, v[1:2], off
	s_mul_i32 s9, s14, s6
	s_lshl_b32 s4, s7, 2
	s_add_i32 s11, s9, s14
	s_add_i32 s0, s4, s8
	s_lshl_b32 s1, s11, 3
	s_add_i32 s0, s0, s1
	s_add_i32 s0, s0, -8
	s_ashr_i32 s1, s0, 31
	s_lshl_b64 s[0:1], s[0:1], 3
	s_add_u32 s0, s2, s0
	s_addc_u32 s1, s3, s1
	s_load_dword s5, s[0:1], 0x4
	s_add_i32 s10, s11, -2
	s_cmp_lt_i32 s10, s9
	s_cbranch_scc1 .LBB18_4
; %bb.2:
	s_lshl_b32 s16, s12, 5
	s_ashr_i32 s17, s16, 31
	s_lshl_b64 s[16:17], s[16:17], 2
	s_add_u32 s10, s2, s16
	s_addc_u32 s13, s3, s17
	s_add_i32 s6, s6, 1
	s_load_dword s0, s[0:1], 0x0
	s_mul_i32 s1, s14, s6
	s_lshl_b32 s7, s7, 11
	s_lshl_b32 s14, s8, 9
	;; [unrolled: 1-line block ×3, first 2 shown]
	s_add_i32 s7, s14, s7
	s_lshl_b32 s1, s1, 3
	s_add_i32 s7, s7, s6
	s_add_i32 s1, s8, s1
	s_lshl_b32 s6, s12, 3
	s_add_i32 s1, s1, s6
	v_or_b32_e32 v0, s7, v0
	s_add_i32 s1, s1, s4
	s_add_i32 s11, s11, -1
	v_add_u32_e32 v3, 0xffffe000, v0
	s_add_i32 s4, s1, -16
	s_waitcnt lgkmcnt(0)
	v_mov_b32_e32 v7, s5
	v_mov_b32_e32 v6, s0
	;; [unrolled: 1-line block ×3, first 2 shown]
	s_mov_b32 s6, 0x3fb8aa3b
	s_mov_b32 s7, 0xc2ce8ed0
	;; [unrolled: 1-line block ×3, first 2 shown]
	v_mov_b32_e32 v5, 0x7f800000
	s_mov_b32 s12, 0xc1a00000
.LBB18_3:                               ; =>This Inner Loop Header: Depth=1
	v_ashrrev_i32_e32 v4, 31, v3
	v_lshlrev_b64 v[9:10], 2, v[3:4]
	s_ashr_i32 s5, s4, 31
	v_add_co_u32_e32 v9, vcc, s10, v9
	v_addc_co_u32_e32 v10, vcc, v0, v10, vcc
	global_load_dword v4, v[9:10], off
	s_lshl_b64 s[0:1], s[4:5], 3
	s_add_u32 s0, s2, s0
	s_addc_u32 s1, s3, s1
	s_load_dwordx2 s[14:15], s[0:1], 0x0
	s_waitcnt vmcnt(1)
	v_mov_b32_e32 v9, v8
	v_max_f32_e32 v8, v6, v6
	v_mov_b32_e32 v10, v7
	s_add_i32 s11, s11, -1
	s_waitcnt lgkmcnt(0)
	v_max_f32_e64 v7, s14, s14
	v_max_f32_e32 v7, v8, v7
	v_sub_f32_e32 v11, s14, v7
	v_sub_f32_e32 v8, v6, v7
	v_mul_f32_e32 v12, 0x3fb8aa3b, v11
	v_mov_b32_e32 v6, v7
	v_mul_f32_e32 v7, 0x3fb8aa3b, v8
	v_fma_f32 v15, v11, s6, -v12
	v_rndne_f32_e32 v16, v12
	v_fma_f32 v13, v8, s6, -v7
	v_rndne_f32_e32 v14, v7
	v_fmac_f32_e32 v15, 0x32a5705f, v11
	v_sub_f32_e32 v12, v12, v16
	v_fmac_f32_e32 v13, 0x32a5705f, v8
	v_sub_f32_e32 v7, v7, v14
	v_add_f32_e32 v12, v12, v15
	v_cvt_i32_f32_e32 v16, v16
	v_add_f32_e32 v7, v7, v13
	v_exp_f32_e32 v12, v12
	v_cvt_i32_f32_e32 v14, v14
	v_exp_f32_e32 v7, v7
	v_cmp_ngt_f32_e32 vcc, s7, v11
	v_ldexp_f32 v12, v12, v16
	v_cmp_ngt_f32_e64 s[0:1], s7, v8
	v_ldexp_f32 v7, v7, v14
	v_cndmask_b32_e32 v12, 0, v12, vcc
	v_cmp_nlt_f32_e32 vcc, s8, v11
	v_cndmask_b32_e64 v7, 0, v7, s[0:1]
	v_cmp_nlt_f32_e64 s[0:1], s8, v8
	v_cndmask_b32_e32 v12, v5, v12, vcc
	v_cmp_le_f32_e32 vcc, s12, v11
	v_cndmask_b32_e64 v7, v5, v7, s[0:1]
	v_cmp_le_f32_e64 s[0:1], s12, v8
	v_cndmask_b32_e32 v8, 0, v12, vcc
	s_add_i32 s4, s4, -8
	v_cndmask_b32_e64 v11, 0, v7, s[0:1]
	v_mul_f32_e32 v7, s15, v8
	v_add_u32_e32 v3, 0xfffff000, v3
	s_cmp_le_i32 s11, s9
	v_fmac_f32_e32 v7, v10, v11
	s_waitcnt vmcnt(0)
	v_mul_f32_e32 v8, v4, v8
	v_fmac_f32_e32 v8, v9, v11
	s_cbranch_scc0 .LBB18_3
	s_branch .LBB18_5
.LBB18_4:
	s_waitcnt lgkmcnt(0)
	v_mov_b32_e32 v7, s5
.LBB18_5:
	s_waitcnt vmcnt(0)
	v_div_scale_f32 v0, s[0:1], v7, v7, v8
	v_div_scale_f32 v3, vcc, v8, v7, v8
	v_rcp_f32_e32 v4, v0
	v_fma_f32 v5, -v0, v4, 1.0
	v_fmac_f32_e32 v4, v5, v4
	v_mul_f32_e32 v5, v3, v4
	v_fma_f32 v6, -v0, v5, v3
	v_fmac_f32_e32 v5, v6, v4
	v_fma_f32 v0, -v0, v5, v3
	v_div_fmas_f32 v0, v0, v4, v5
	v_div_fixup_f32 v0, v0, v7, v8
	global_store_dword v[1:2], v0, off
.LBB18_6:
	s_endpgm
	.section	.rodata,"a",@progbits
	.p2align	6, 0x0
	.amdhsa_kernel _ZL33flash_attn_stream_k_fixup_uniformILi512ELi2ELi4EEvPfPK15HIP_vector_typeIfLj2EEiiiiiiS1_IjLj3EES5_S5_
		.amdhsa_group_segment_fixed_size 0
		.amdhsa_private_segment_fixed_size 0
		.amdhsa_kernarg_size 76
		.amdhsa_user_sgpr_count 6
		.amdhsa_user_sgpr_private_segment_buffer 1
		.amdhsa_user_sgpr_dispatch_ptr 0
		.amdhsa_user_sgpr_queue_ptr 0
		.amdhsa_user_sgpr_kernarg_segment_ptr 1
		.amdhsa_user_sgpr_dispatch_id 0
		.amdhsa_user_sgpr_flat_scratch_init 0
		.amdhsa_user_sgpr_private_segment_size 0
		.amdhsa_uses_dynamic_stack 0
		.amdhsa_system_sgpr_private_segment_wavefront_offset 0
		.amdhsa_system_sgpr_workgroup_id_x 1
		.amdhsa_system_sgpr_workgroup_id_y 1
		.amdhsa_system_sgpr_workgroup_id_z 1
		.amdhsa_system_sgpr_workgroup_info 0
		.amdhsa_system_vgpr_workitem_id 0
		.amdhsa_next_free_vgpr 17
		.amdhsa_next_free_sgpr 20
		.amdhsa_reserve_vcc 1
		.amdhsa_reserve_flat_scratch 0
		.amdhsa_float_round_mode_32 0
		.amdhsa_float_round_mode_16_64 0
		.amdhsa_float_denorm_mode_32 3
		.amdhsa_float_denorm_mode_16_64 3
		.amdhsa_dx10_clamp 1
		.amdhsa_ieee_mode 1
		.amdhsa_fp16_overflow 0
		.amdhsa_exception_fp_ieee_invalid_op 0
		.amdhsa_exception_fp_denorm_src 0
		.amdhsa_exception_fp_ieee_div_zero 0
		.amdhsa_exception_fp_ieee_overflow 0
		.amdhsa_exception_fp_ieee_underflow 0
		.amdhsa_exception_fp_ieee_inexact 0
		.amdhsa_exception_int_div_zero 0
	.end_amdhsa_kernel
	.section	.text._ZL33flash_attn_stream_k_fixup_uniformILi512ELi2ELi4EEvPfPK15HIP_vector_typeIfLj2EEiiiiiiS1_IjLj3EES5_S5_,"axG",@progbits,_ZL33flash_attn_stream_k_fixup_uniformILi512ELi2ELi4EEvPfPK15HIP_vector_typeIfLj2EEiiiiiiS1_IjLj3EES5_S5_,comdat
.Lfunc_end18:
	.size	_ZL33flash_attn_stream_k_fixup_uniformILi512ELi2ELi4EEvPfPK15HIP_vector_typeIfLj2EEiiiiiiS1_IjLj3EES5_S5_, .Lfunc_end18-_ZL33flash_attn_stream_k_fixup_uniformILi512ELi2ELi4EEvPfPK15HIP_vector_typeIfLj2EEiiiiiiS1_IjLj3EES5_S5_
                                        ; -- End function
	.set _ZL33flash_attn_stream_k_fixup_uniformILi512ELi2ELi4EEvPfPK15HIP_vector_typeIfLj2EEiiiiiiS1_IjLj3EES5_S5_.num_vgpr, 17
	.set _ZL33flash_attn_stream_k_fixup_uniformILi512ELi2ELi4EEvPfPK15HIP_vector_typeIfLj2EEiiiiiiS1_IjLj3EES5_S5_.num_agpr, 0
	.set _ZL33flash_attn_stream_k_fixup_uniformILi512ELi2ELi4EEvPfPK15HIP_vector_typeIfLj2EEiiiiiiS1_IjLj3EES5_S5_.numbered_sgpr, 20
	.set _ZL33flash_attn_stream_k_fixup_uniformILi512ELi2ELi4EEvPfPK15HIP_vector_typeIfLj2EEiiiiiiS1_IjLj3EES5_S5_.num_named_barrier, 0
	.set _ZL33flash_attn_stream_k_fixup_uniformILi512ELi2ELi4EEvPfPK15HIP_vector_typeIfLj2EEiiiiiiS1_IjLj3EES5_S5_.private_seg_size, 0
	.set _ZL33flash_attn_stream_k_fixup_uniformILi512ELi2ELi4EEvPfPK15HIP_vector_typeIfLj2EEiiiiiiS1_IjLj3EES5_S5_.uses_vcc, 1
	.set _ZL33flash_attn_stream_k_fixup_uniformILi512ELi2ELi4EEvPfPK15HIP_vector_typeIfLj2EEiiiiiiS1_IjLj3EES5_S5_.uses_flat_scratch, 0
	.set _ZL33flash_attn_stream_k_fixup_uniformILi512ELi2ELi4EEvPfPK15HIP_vector_typeIfLj2EEiiiiiiS1_IjLj3EES5_S5_.has_dyn_sized_stack, 0
	.set _ZL33flash_attn_stream_k_fixup_uniformILi512ELi2ELi4EEvPfPK15HIP_vector_typeIfLj2EEiiiiiiS1_IjLj3EES5_S5_.has_recursion, 0
	.set _ZL33flash_attn_stream_k_fixup_uniformILi512ELi2ELi4EEvPfPK15HIP_vector_typeIfLj2EEiiiiiiS1_IjLj3EES5_S5_.has_indirect_call, 0
	.section	.AMDGPU.csdata,"",@progbits
; Kernel info:
; codeLenInByte = 856
; TotalNumSgprs: 24
; NumVgprs: 17
; ScratchSize: 0
; MemoryBound: 0
; FloatMode: 240
; IeeeMode: 1
; LDSByteSize: 0 bytes/workgroup (compile time only)
; SGPRBlocks: 2
; VGPRBlocks: 4
; NumSGPRsForWavesPerEU: 24
; NumVGPRsForWavesPerEU: 17
; Occupancy: 10
; WaveLimiterHint : 0
; COMPUTE_PGM_RSRC2:SCRATCH_EN: 0
; COMPUTE_PGM_RSRC2:USER_SGPR: 6
; COMPUTE_PGM_RSRC2:TRAP_HANDLER: 0
; COMPUTE_PGM_RSRC2:TGID_X_EN: 1
; COMPUTE_PGM_RSRC2:TGID_Y_EN: 1
; COMPUTE_PGM_RSRC2:TGID_Z_EN: 1
; COMPUTE_PGM_RSRC2:TIDIG_COMP_CNT: 0
	.section	.text._ZL33flash_attn_stream_k_fixup_generalILi512ELi2ELi4EEvPfPK15HIP_vector_typeIfLj2EEiiiiS1_IjLj3EES5_S5_S5_,"axG",@progbits,_ZL33flash_attn_stream_k_fixup_generalILi512ELi2ELi4EEvPfPK15HIP_vector_typeIfLj2EEiiiiS1_IjLj3EES5_S5_S5_,comdat
	.globl	_ZL33flash_attn_stream_k_fixup_generalILi512ELi2ELi4EEvPfPK15HIP_vector_typeIfLj2EEiiiiS1_IjLj3EES5_S5_S5_ ; -- Begin function _ZL33flash_attn_stream_k_fixup_generalILi512ELi2ELi4EEvPfPK15HIP_vector_typeIfLj2EEiiiiS1_IjLj3EES5_S5_S5_
	.p2align	8
	.type	_ZL33flash_attn_stream_k_fixup_generalILi512ELi2ELi4EEvPfPK15HIP_vector_typeIfLj2EEiiiiS1_IjLj3EES5_S5_S5_,@function
_ZL33flash_attn_stream_k_fixup_generalILi512ELi2ELi4EEvPfPK15HIP_vector_typeIfLj2EEiiiiS1_IjLj3EES5_S5_S5_: ; @_ZL33flash_attn_stream_k_fixup_generalILi512ELi2ELi4EEvPfPK15HIP_vector_typeIfLj2EEiiiiS1_IjLj3EES5_S5_S5_
; %bb.0:
	s_load_dwordx4 s[0:3], s[4:5], 0x10
	s_load_dword s22, s[4:5], 0x50
	s_mov_b32 s12, 0
	s_waitcnt lgkmcnt(0)
	s_mul_hi_i32 s13, s3, s6
	s_cmp_lg_u64 s[12:13], 0
	s_mul_i32 s9, s3, s6
	s_cbranch_scc0 .LBB19_20
; %bb.1:
	s_add_u32 s10, s22, 0
	s_addc_u32 s11, 0, 0
	s_xor_b64 s[10:11], s[10:11], 0
	v_cvt_f32_u32_e32 v1, s10
	v_cvt_f32_u32_e32 v2, s11
	s_sub_u32 s12, 0, s10
	s_subb_u32 s18, 0, s11
	v_madmk_f32 v1, v2, 0x4f800000, v1
	v_rcp_f32_e32 v1, v1
	v_mul_f32_e32 v1, 0x5f7ffffc, v1
	v_mul_f32_e32 v2, 0x2f800000, v1
	v_trunc_f32_e32 v2, v2
	v_madmk_f32 v1, v2, 0xcf800000, v1
	v_cvt_u32_f32_e32 v2, v2
	v_cvt_u32_f32_e32 v1, v1
	v_readfirstlane_b32 s19, v2
	v_readfirstlane_b32 s14, v1
	s_mul_i32 s15, s12, s19
	s_mul_hi_u32 s21, s12, s14
	s_mul_i32 s20, s18, s14
	s_add_i32 s15, s21, s15
	s_add_i32 s15, s15, s20
	s_mul_i32 s23, s12, s14
	s_mul_i32 s21, s14, s15
	s_mul_hi_u32 s24, s14, s23
	s_mul_hi_u32 s20, s14, s15
	s_add_u32 s21, s24, s21
	s_addc_u32 s20, 0, s20
	s_mul_hi_u32 s25, s19, s23
	s_mul_i32 s23, s19, s23
	s_add_u32 s21, s21, s23
	s_mul_hi_u32 s24, s19, s15
	s_addc_u32 s20, s20, s25
	s_addc_u32 s21, s24, 0
	s_mul_i32 s15, s19, s15
	s_add_u32 s15, s20, s15
	s_addc_u32 s20, 0, s21
	s_add_u32 s21, s14, s15
	s_cselect_b64 s[14:15], -1, 0
	s_cmp_lg_u64 s[14:15], 0
	s_addc_u32 s19, s19, s20
	s_mul_i32 s14, s12, s19
	s_mul_hi_u32 s15, s12, s21
	s_add_i32 s14, s15, s14
	s_mul_i32 s18, s18, s21
	s_add_i32 s14, s14, s18
	s_mul_i32 s12, s12, s21
	s_mul_hi_u32 s18, s19, s12
	s_mul_i32 s20, s19, s12
	s_mul_i32 s24, s21, s14
	s_mul_hi_u32 s12, s21, s12
	s_mul_hi_u32 s23, s21, s14
	s_add_u32 s12, s12, s24
	s_addc_u32 s23, 0, s23
	s_add_u32 s12, s12, s20
	s_mul_hi_u32 s15, s19, s14
	s_addc_u32 s12, s23, s18
	s_addc_u32 s15, s15, 0
	s_mul_i32 s14, s19, s14
	s_add_u32 s12, s12, s14
	s_addc_u32 s18, 0, s15
	s_add_u32 s20, s21, s12
	s_cselect_b64 s[14:15], -1, 0
	s_cmp_lg_u64 s[14:15], 0
	s_addc_u32 s18, s19, s18
	s_ashr_i32 s14, s13, 31
	s_add_u32 s12, s9, s14
	s_mov_b32 s15, s14
	s_addc_u32 s13, s13, s14
	s_xor_b64 s[12:13], s[12:13], s[14:15]
	s_mul_i32 s21, s12, s18
	s_mul_hi_u32 s23, s12, s20
	s_mul_hi_u32 s19, s12, s18
	s_add_u32 s21, s23, s21
	s_addc_u32 s19, 0, s19
	s_mul_hi_u32 s24, s13, s20
	s_mul_i32 s20, s13, s20
	s_add_u32 s20, s21, s20
	s_mul_hi_u32 s23, s13, s18
	s_addc_u32 s19, s19, s24
	s_addc_u32 s20, s23, 0
	s_mul_i32 s18, s13, s18
	s_add_u32 s23, s19, s18
	s_addc_u32 s24, 0, s20
	s_mul_i32 s18, s10, s24
	s_mul_hi_u32 s19, s10, s23
	s_add_i32 s18, s19, s18
	s_mul_i32 s19, s11, s23
	s_add_i32 s25, s18, s19
	s_sub_i32 s20, s13, s25
	s_mul_i32 s18, s10, s23
	s_sub_u32 s12, s12, s18
	s_cselect_b64 s[18:19], -1, 0
	s_cmp_lg_u64 s[18:19], 0
	s_subb_u32 s26, s20, s11
	s_sub_u32 s27, s12, s10
	s_cselect_b64 s[20:21], -1, 0
	s_cmp_lg_u64 s[20:21], 0
	s_subb_u32 s20, s26, 0
	s_cmp_ge_u32 s20, s11
	s_cselect_b32 s21, -1, 0
	s_cmp_ge_u32 s27, s10
	s_cselect_b32 s26, -1, 0
	s_cmp_eq_u32 s20, s11
	s_cselect_b32 s20, s26, s21
	s_add_u32 s21, s23, 1
	s_addc_u32 s26, s24, 0
	s_add_u32 s27, s23, 2
	s_addc_u32 s28, s24, 0
	s_cmp_lg_u32 s20, 0
	s_cselect_b32 s20, s27, s21
	s_cselect_b32 s21, s28, s26
	s_cmp_lg_u64 s[18:19], 0
	s_subb_u32 s13, s13, s25
	s_cmp_ge_u32 s13, s11
	s_cselect_b32 s18, -1, 0
	s_cmp_ge_u32 s12, s10
	s_cselect_b32 s10, -1, 0
	s_cmp_eq_u32 s13, s11
	s_cselect_b32 s10, s10, s18
	s_cmp_lg_u32 s10, 0
	s_cselect_b32 s11, s21, s24
	s_cselect_b32 s10, s20, s23
	s_xor_b64 s[12:13], s[14:15], 0
	s_xor_b64 s[10:11], s[10:11], s[12:13]
	s_sub_u32 s10, s10, s12
	s_load_dwordx4 s[12:15], s[4:5], 0x44
	s_cbranch_execnz .LBB19_3
.LBB19_2:
	v_cvt_f32_u32_e32 v1, s22
	s_sub_i32 s10, 0, s22
	v_rcp_iflag_f32_e32 v1, v1
	v_mul_f32_e32 v1, 0x4f7ffffe, v1
	v_cvt_u32_f32_e32 v1, v1
	v_readfirstlane_b32 s11, v1
	s_mul_i32 s10, s10, s11
	s_mul_hi_u32 s10, s11, s10
	s_add_i32 s11, s11, s10
	s_mul_hi_u32 s10, s9, s11
	s_waitcnt lgkmcnt(0)
	s_mul_i32 s15, s10, s22
	s_sub_i32 s9, s9, s15
	s_add_i32 s11, s10, 1
	s_sub_i32 s15, s9, s22
	s_cmp_ge_u32 s9, s22
	s_cselect_b32 s10, s11, s10
	s_cselect_b32 s9, s15, s9
	s_add_i32 s11, s10, 1
	s_cmp_ge_u32 s9, s22
	s_cselect_b32 s10, s11, s10
.LBB19_3:
	s_add_i32 s9, s6, 1
	s_mul_hi_i32 s21, s3, s9
	s_mov_b32 s20, 0
	s_cmp_lg_u64 s[20:21], 0
	s_mul_i32 s9, s3, s9
	s_cbranch_scc0 .LBB19_21
; %bb.4:
	s_add_u32 s16, s22, 0
	s_addc_u32 s17, 0, 0
	s_xor_b64 s[18:19], s[16:17], 0
	v_cvt_f32_u32_e32 v1, s18
	v_cvt_f32_u32_e32 v2, s19
	s_sub_u32 s11, 0, s18
	s_waitcnt lgkmcnt(0)
	s_subb_u32 s15, 0, s19
	v_madmk_f32 v1, v2, 0x4f800000, v1
	v_rcp_f32_e32 v1, v1
	v_mul_f32_e32 v1, 0x5f7ffffc, v1
	v_mul_f32_e32 v2, 0x2f800000, v1
	v_trunc_f32_e32 v2, v2
	v_madmk_f32 v1, v2, 0xcf800000, v1
	v_cvt_u32_f32_e32 v2, v2
	v_cvt_u32_f32_e32 v1, v1
	v_readfirstlane_b32 s20, v2
	v_readfirstlane_b32 s23, v1
	s_mul_i32 s24, s11, s20
	s_mul_hi_u32 s26, s11, s23
	s_mul_i32 s25, s15, s23
	s_add_i32 s24, s26, s24
	s_add_i32 s24, s24, s25
	s_mul_i32 s27, s11, s23
	s_mul_i32 s26, s23, s24
	s_mul_hi_u32 s28, s23, s27
	s_mul_hi_u32 s25, s23, s24
	s_add_u32 s26, s28, s26
	s_addc_u32 s25, 0, s25
	s_mul_hi_u32 s29, s20, s27
	s_mul_i32 s27, s20, s27
	s_add_u32 s26, s26, s27
	s_mul_hi_u32 s28, s20, s24
	s_addc_u32 s25, s25, s29
	s_addc_u32 s26, s28, 0
	s_mul_i32 s24, s20, s24
	s_add_u32 s24, s25, s24
	s_addc_u32 s26, 0, s26
	s_add_u32 s23, s23, s24
	s_cselect_b64 s[24:25], -1, 0
	s_cmp_lg_u64 s[24:25], 0
	s_addc_u32 s20, s20, s26
	s_mul_i32 s24, s11, s20
	s_mul_hi_u32 s25, s11, s23
	s_add_i32 s24, s25, s24
	s_mul_i32 s15, s15, s23
	s_add_i32 s24, s24, s15
	s_mul_i32 s11, s11, s23
	s_mul_hi_u32 s25, s20, s11
	s_mul_i32 s26, s20, s11
	s_mul_i32 s28, s23, s24
	s_mul_hi_u32 s11, s23, s11
	s_mul_hi_u32 s27, s23, s24
	s_add_u32 s11, s11, s28
	s_addc_u32 s27, 0, s27
	s_add_u32 s11, s11, s26
	s_mul_hi_u32 s15, s20, s24
	s_addc_u32 s11, s27, s25
	s_addc_u32 s15, s15, 0
	s_mul_i32 s24, s20, s24
	s_add_u32 s11, s11, s24
	s_addc_u32 s15, 0, s15
	s_add_u32 s11, s23, s11
	s_cselect_b64 s[24:25], -1, 0
	s_cmp_lg_u64 s[24:25], 0
	s_addc_u32 s15, s20, s15
	s_ashr_i32 s24, s21, 31
	s_add_u32 s20, s9, s24
	s_mov_b32 s25, s24
	s_addc_u32 s21, s21, s24
	s_xor_b64 s[20:21], s[20:21], s[24:25]
	s_mul_i32 s26, s20, s15
	s_mul_hi_u32 s27, s20, s11
	s_mul_hi_u32 s23, s20, s15
	s_add_u32 s26, s27, s26
	s_addc_u32 s23, 0, s23
	s_mul_hi_u32 s28, s21, s11
	s_mul_i32 s11, s21, s11
	s_add_u32 s11, s26, s11
	s_mul_hi_u32 s27, s21, s15
	s_addc_u32 s11, s23, s28
	s_addc_u32 s23, s27, 0
	s_mul_i32 s15, s21, s15
	s_add_u32 s11, s11, s15
	s_addc_u32 s15, 0, s23
	s_mul_i32 s23, s18, s15
	s_mul_hi_u32 s26, s18, s11
	s_add_i32 s23, s26, s23
	s_mul_i32 s26, s19, s11
	s_add_i32 s23, s23, s26
	s_sub_i32 s28, s21, s23
	s_mul_i32 s26, s18, s11
	s_sub_u32 s20, s20, s26
	s_cselect_b64 s[26:27], -1, 0
	s_cmp_lg_u64 s[26:27], 0
	s_subb_u32 s30, s28, s19
	s_sub_u32 s31, s20, s18
	s_cselect_b64 s[28:29], -1, 0
	s_cmp_lg_u64 s[28:29], 0
	s_subb_u32 s28, s30, 0
	s_cmp_ge_u32 s28, s19
	s_cselect_b32 s29, -1, 0
	s_cmp_ge_u32 s31, s18
	s_cselect_b32 s30, -1, 0
	s_cmp_eq_u32 s28, s19
	s_cselect_b32 s28, s30, s29
	s_add_u32 s29, s11, 1
	s_addc_u32 s30, s15, 0
	s_add_u32 s31, s11, 2
	s_addc_u32 s33, s15, 0
	s_cmp_lg_u32 s28, 0
	s_cselect_b32 s28, s31, s29
	s_cselect_b32 s29, s33, s30
	s_cmp_lg_u64 s[26:27], 0
	s_subb_u32 s21, s21, s23
	s_cmp_ge_u32 s21, s19
	s_cselect_b32 s23, -1, 0
	s_cmp_ge_u32 s20, s18
	s_cselect_b32 s18, -1, 0
	s_cmp_eq_u32 s21, s19
	s_cselect_b32 s18, s18, s23
	s_cmp_lg_u32 s18, 0
	s_cselect_b32 s19, s29, s15
	s_cselect_b32 s18, s28, s11
	s_xor_b64 s[20:21], s[24:25], 0
	s_xor_b64 s[18:19], s[18:19], s[20:21]
	s_sub_u32 s18, s18, s20
	s_cbranch_execnz .LBB19_6
.LBB19_5:
	v_cvt_f32_u32_e32 v1, s22
	s_sub_i32 s11, 0, s22
	v_rcp_iflag_f32_e32 v1, v1
	v_mul_f32_e32 v1, 0x4f7ffffe, v1
	v_cvt_u32_f32_e32 v1, v1
	s_waitcnt lgkmcnt(0)
	v_readfirstlane_b32 s15, v1
	s_mul_i32 s11, s11, s15
	s_mul_hi_u32 s11, s15, s11
	s_add_i32 s15, s15, s11
	s_mul_hi_u32 s11, s9, s15
	s_mul_i32 s16, s11, s22
	s_sub_i32 s9, s9, s16
	s_add_i32 s15, s11, 1
	s_sub_i32 s16, s9, s22
	s_cmp_ge_u32 s9, s22
	s_cselect_b32 s11, s15, s11
	s_cselect_b32 s9, s16, s9
	s_add_i32 s15, s11, 1
	s_cmp_ge_u32 s9, s22
	s_cselect_b32 s18, s15, s11
.LBB19_6:
	s_cmp_eq_u32 s10, s18
	s_waitcnt lgkmcnt(0)
	s_mul_hi_u32 s9, s10, s12
	s_cselect_b64 s[16:17], -1, 0
	s_add_i32 s9, s9, s10
	s_lshr_b32 s11, s9, s13
	s_mul_i32 s9, s11, s14
	s_cmp_eq_u32 s9, s10
	s_mul_hi_u32 s9, s18, s12
	s_cselect_b64 s[20:21], -1, 0
	s_add_i32 s9, s9, s18
	s_lshr_b32 s9, s9, s13
	s_cmp_eq_u32 s11, s9
	s_mul_i32 s9, s9, s14
	s_cselect_b64 s[24:25], -1, 0
	s_cmp_lg_u32 s9, s18
	s_cselect_b64 s[18:19], -1, 0
	s_and_b64 s[18:19], s[24:25], s[18:19]
	s_or_b64 s[16:17], s[16:17], s[20:21]
	s_or_b64 s[16:17], s[16:17], s[18:19]
	s_and_b64 vcc, exec, s[16:17]
	s_cbranch_vccnz .LBB19_23
; %bb.7:
	s_load_dwordx8 s[24:31], s[4:5], 0x20
	s_load_dword s15, s[4:5], 0x40
	s_waitcnt lgkmcnt(0)
	s_mul_hi_u32 s9, s10, s24
	s_add_i32 s9, s9, s10
	s_lshr_b32 s9, s9, s25
	s_mul_i32 s16, s9, s26
	s_sub_i32 s16, s10, s16
	s_mul_hi_u32 s17, s16, s27
	s_add_i32 s17, s16, s17
	s_lshr_b32 s23, s17, s28
	s_mul_i32 s17, s23, s29
	s_sub_i32 s16, s16, s17
	;; [unrolled: 5-line block ×3, first 2 shown]
	s_mul_hi_u32 s16, s15, s12
	s_add_i32 s15, s15, s16
	s_lshr_b32 s25, s15, s13
	s_lshl_b32 s15, s25, 1
	s_lshl_b32 s24, s17, 2
	s_add_i32 s15, s15, s7
	s_cmp_lt_i32 s15, s0
	s_cselect_b64 s[16:17], -1, 0
	s_add_i32 s15, s24, s8
	s_cmp_lt_i32 s15, s2
	s_cselect_b64 s[18:19], -1, 0
	s_and_b64 s[16:17], s[16:17], s[18:19]
	s_andn2_b64 vcc, exec, s[16:17]
	s_cbranch_vccnz .LBB19_23
; %bb.8:
	s_load_dwordx4 s[16:19], s[4:5], 0x0
	s_mov_b32 s4, 0
	s_lshl_b32 s15, s7, 2
	s_lshl_b32 s20, s22, 5
	s_mov_b32 s21, s4
	s_add_i32 s15, s15, s8
	s_lshl_b64 s[20:21], s[20:21], 2
	s_waitcnt lgkmcnt(0)
	s_add_u32 s20, s18, s20
	s_mul_i32 s0, s9, s0
	s_addc_u32 s21, s19, s21
	s_add_i32 s0, s0, s7
	s_mul_i32 s0, s0, s1
	s_mul_i32 s23, s23, s2
	s_add_i32 s0, s0, s8
	s_add_i32 s0, s0, s23
	s_mul_i32 s2, s1, s25
	s_add_i32 s0, s0, s24
	s_lshl_b32 s2, s2, 10
	s_lshl_b32 s0, s0, 9
	s_add_i32 s2, s2, s0
	v_or_b32_e32 v1, s2, v0
	v_ashrrev_i32_e32 v2, 31, v1
	v_lshlrev_b64 v[1:2], 2, v[1:2]
	v_mov_b32_e32 v3, s17
	v_add_co_u32_e32 v1, vcc, s16, v1
	v_addc_co_u32_e32 v2, vcc, v3, v2, vcc
	global_load_dword v3, v[1:2], off
	v_cvt_f32_u32_e32 v4, s22
	s_lshl_b32 s0, s6, 3
	s_add_i32 s0, s15, s0
	s_ashr_i32 s1, s0, 31
	s_lshl_b64 s[0:1], s[0:1], 3
	v_rcp_iflag_f32_e32 v4, v4
	s_add_u32 s0, s18, s0
	s_addc_u32 s1, s19, s1
	s_load_dwordx2 s[0:1], s[0:1], 0x0
	v_mul_f32_e32 v4, 0x4f7ffffe, v4
	v_cvt_u32_f32_e32 v4, v4
	s_add_i32 s24, s6, -1
	v_lshl_or_b32 v0, s15, 9, v0
	s_waitcnt lgkmcnt(0)
	v_mov_b32_e32 v6, s1
	v_mov_b32_e32 v7, s0
	s_mov_b32 s2, 0x3fb8aa3b
	s_mov_b32 s16, 0xc2ce8ed0
	;; [unrolled: 1-line block ×4, first 2 shown]
	v_mov_b32_e32 v5, 0x7f800000
	s_mul_hi_i32 s5, s24, s3
	s_cmp_lg_u64 s[4:5], 0
	s_mul_i32 s8, s24, s3
	s_cbranch_scc0 .LBB19_19
.LBB19_9:
	s_add_u32 s0, s22, 0
	s_addc_u32 s1, 0, 0
	s_xor_b64 s[0:1], s[0:1], 0
	v_cvt_f32_u32_e32 v8, s0
	v_cvt_f32_u32_e32 v9, s1
	s_sub_u32 s9, 0, s0
	s_subb_u32 s25, 0, s1
	v_mac_f32_e32 v8, 0x4f800000, v9
	v_rcp_f32_e32 v8, v8
	v_mul_f32_e32 v8, 0x5f7ffffc, v8
	v_mul_f32_e32 v9, 0x2f800000, v8
	v_trunc_f32_e32 v9, v9
	v_mac_f32_e32 v8, 0xcf800000, v9
	v_cvt_u32_f32_e32 v9, v9
	v_cvt_u32_f32_e32 v8, v8
	v_readfirstlane_b32 s26, v9
	v_readfirstlane_b32 s6, v8
	s_mul_i32 s7, s9, s26
	s_mul_hi_u32 s28, s9, s6
	s_mul_i32 s27, s25, s6
	s_add_i32 s7, s28, s7
	s_mul_i32 s29, s9, s6
	s_add_i32 s7, s7, s27
	s_mul_i32 s28, s6, s7
	s_mul_hi_u32 s30, s6, s29
	s_mul_hi_u32 s27, s6, s7
	s_add_u32 s28, s30, s28
	s_addc_u32 s27, 0, s27
	s_mul_hi_u32 s31, s26, s29
	s_mul_i32 s29, s26, s29
	s_add_u32 s28, s28, s29
	s_mul_hi_u32 s30, s26, s7
	s_addc_u32 s27, s27, s31
	s_addc_u32 s28, s30, 0
	s_mul_i32 s7, s26, s7
	s_add_u32 s7, s27, s7
	s_addc_u32 s27, 0, s28
	s_add_u32 s28, s6, s7
	s_cselect_b64 s[6:7], -1, 0
	s_cmp_lg_u64 s[6:7], 0
	s_addc_u32 s26, s26, s27
	s_mul_i32 s6, s9, s26
	s_mul_hi_u32 s7, s9, s28
	s_add_i32 s6, s7, s6
	s_mul_i32 s25, s25, s28
	s_add_i32 s6, s6, s25
	s_mul_i32 s9, s9, s28
	s_mul_hi_u32 s25, s26, s9
	s_mul_i32 s27, s26, s9
	s_mul_i32 s30, s28, s6
	s_mul_hi_u32 s9, s28, s9
	s_mul_hi_u32 s29, s28, s6
	s_add_u32 s9, s9, s30
	s_addc_u32 s29, 0, s29
	s_add_u32 s9, s9, s27
	s_mul_hi_u32 s7, s26, s6
	s_addc_u32 s9, s29, s25
	s_addc_u32 s7, s7, 0
	s_mul_i32 s6, s26, s6
	s_add_u32 s6, s9, s6
	s_addc_u32 s9, 0, s7
	s_add_u32 s25, s28, s6
	s_cselect_b64 s[6:7], -1, 0
	s_cmp_lg_u64 s[6:7], 0
	s_addc_u32 s9, s26, s9
	s_ashr_i32 s6, s5, 31
	s_add_u32 s26, s8, s6
	s_mov_b32 s7, s6
	s_addc_u32 s27, s5, s6
	s_xor_b64 s[26:27], s[26:27], s[6:7]
	s_mul_i32 s28, s26, s9
	s_mul_hi_u32 s29, s26, s25
	s_mul_hi_u32 s5, s26, s9
	s_add_u32 s28, s29, s28
	s_addc_u32 s5, 0, s5
	s_mul_hi_u32 s30, s27, s25
	s_mul_i32 s25, s27, s25
	s_add_u32 s25, s28, s25
	s_mul_hi_u32 s29, s27, s9
	s_addc_u32 s5, s5, s30
	s_addc_u32 s25, s29, 0
	s_mul_i32 s9, s27, s9
	s_add_u32 s5, s5, s9
	s_addc_u32 s9, 0, s25
	s_mul_i32 s25, s0, s9
	s_mul_hi_u32 s28, s0, s5
	s_add_i32 s25, s28, s25
	s_mul_i32 s28, s1, s5
	s_add_i32 s25, s25, s28
	s_sub_i32 s30, s27, s25
	s_mul_i32 s28, s0, s5
	s_sub_u32 s26, s26, s28
	s_cselect_b64 s[28:29], -1, 0
	s_cmp_lg_u64 s[28:29], 0
	s_subb_u32 s33, s30, s1
	s_sub_u32 s34, s26, s0
	s_cselect_b64 s[30:31], -1, 0
	s_cmp_lg_u64 s[30:31], 0
	s_subb_u32 s30, s33, 0
	s_cmp_ge_u32 s30, s1
	s_cselect_b32 s31, -1, 0
	s_cmp_ge_u32 s34, s0
	s_cselect_b32 s33, -1, 0
	s_cmp_eq_u32 s30, s1
	s_cselect_b32 s30, s33, s31
	s_add_u32 s31, s5, 1
	s_addc_u32 s33, s9, 0
	s_add_u32 s34, s5, 2
	s_addc_u32 s35, s9, 0
	s_cmp_lg_u32 s30, 0
	s_cselect_b32 s30, s34, s31
	s_cselect_b32 s31, s35, s33
	s_cmp_lg_u64 s[28:29], 0
	s_subb_u32 s25, s27, s25
	s_cmp_ge_u32 s25, s1
	s_cselect_b32 s27, -1, 0
	s_cmp_ge_u32 s26, s0
	s_cselect_b32 s0, -1, 0
	s_cmp_eq_u32 s25, s1
	s_cselect_b32 s0, s0, s27
	s_cmp_lg_u32 s0, 0
	s_cselect_b32 s1, s31, s9
	s_cselect_b32 s0, s30, s5
	s_xor_b64 s[6:7], s[6:7], 0
	s_xor_b64 s[0:1], s[0:1], s[6:7]
	s_sub_u32 s6, s0, s6
	s_cbranch_execnz .LBB19_11
.LBB19_10:
	s_sub_i32 s0, 0, s22
	v_readfirstlane_b32 s1, v4
	s_mul_i32 s0, s0, s1
	s_mul_hi_u32 s0, s1, s0
	s_add_i32 s1, s1, s0
	s_mul_hi_u32 s0, s8, s1
	s_mul_i32 s5, s0, s22
	s_sub_i32 s5, s8, s5
	s_add_i32 s1, s0, 1
	s_sub_i32 s6, s5, s22
	s_cmp_ge_u32 s5, s22
	s_cselect_b32 s0, s1, s0
	s_cselect_b32 s5, s6, s5
	s_add_i32 s1, s0, 1
	s_cmp_ge_u32 s5, s22
	s_cselect_b32 s6, s1, s0
.LBB19_11:
	s_cmp_lg_u32 s10, s6
	s_mov_b64 s[8:9], -1
                                        ; implicit-def: $sgpr0_sgpr1
                                        ; implicit-def: $vgpr10
                                        ; implicit-def: $vgpr8
                                        ; implicit-def: $vgpr9
                                        ; implicit-def: $sgpr5
                                        ; implicit-def: $sgpr7
	s_cbranch_scc1 .LBB19_14
; %bb.12:
	s_andn2_b64 vcc, exec, s[8:9]
	s_cbranch_vccz .LBB19_17
.LBB19_13:
	s_andn2_b64 vcc, exec, s[0:1]
	s_cbranch_vccnz .LBB19_18
	s_branch .LBB19_22
.LBB19_14:
	s_add_i32 s0, s24, s22
	s_lshl_b32 s0, s0, 3
	s_add_i32 s0, s0, s15
	s_mov_b32 s1, s4
	s_lshl_b64 s[0:1], s[0:1], 3
	s_add_u32 s8, s18, s0
	s_mul_hi_u32 s0, s6, s12
	s_addc_u32 s9, s19, s1
	s_add_i32 s0, s0, s6
	s_lshr_b32 s5, s0, s13
	s_mul_i32 s0, s5, s14
	s_cmp_eq_u32 s0, s6
	s_cselect_b64 s[0:1], -1, 0
	s_cmp_lt_u32 s5, s11
	s_cselect_b64 s[26:27], -1, 0
	s_or_b64 s[26:27], s[26:27], s[0:1]
	s_mov_b64 s[0:1], -1
	s_and_b64 vcc, exec, s[26:27]
	s_mov_b32 s5, s24
	s_mov_b32 s7, s10
	s_cbranch_vccnz .LBB19_16
; %bb.15:
	s_add_i32 s5, s24, -1
	s_mov_b64 s[0:1], 0
	s_mov_b32 s7, s6
.LBB19_16:
	v_lshl_add_u32 v8, s24, 12, v0
	v_ashrrev_i32_e32 v9, 31, v8
	v_lshlrev_b64 v[8:9], 2, v[8:9]
	v_mov_b32_e32 v10, s21
	v_add_co_u32_e32 v8, vcc, s20, v8
	v_addc_co_u32_e32 v9, vcc, v10, v9, vcc
	global_load_dword v10, v[8:9], off
	s_load_dwordx2 s[8:9], s[8:9], 0x0
	v_max_f32_e32 v8, v7, v7
	s_waitcnt lgkmcnt(0)
	v_max_f32_e64 v9, s8, s8
	v_max_f32_e32 v8, v8, v9
	v_sub_f32_e32 v9, v7, v8
	v_sub_f32_e32 v11, s8, v8
	v_mul_f32_e32 v12, 0x3fb8aa3b, v9
	v_mul_f32_e32 v13, 0x3fb8aa3b, v11
	v_fma_f32 v14, v9, s2, -v12
	v_rndne_f32_e32 v15, v12
	v_fma_f32 v16, v11, s2, -v13
	v_rndne_f32_e32 v17, v13
	v_fmac_f32_e32 v14, 0x32a5705f, v9
	v_sub_f32_e32 v12, v12, v15
	v_fmac_f32_e32 v16, 0x32a5705f, v11
	v_sub_f32_e32 v13, v13, v17
	v_add_f32_e32 v12, v12, v14
	v_cvt_i32_f32_e32 v15, v15
	v_add_f32_e32 v13, v13, v16
	v_exp_f32_e32 v12, v12
	v_cvt_i32_f32_e32 v17, v17
	v_exp_f32_e32 v13, v13
	v_cmp_ngt_f32_e32 vcc, s16, v9
	v_ldexp_f32 v12, v12, v15
	v_cndmask_b32_e32 v12, 0, v12, vcc
	v_ldexp_f32 v13, v13, v17
	v_cmp_ngt_f32_e32 vcc, s16, v11
	v_cndmask_b32_e32 v13, 0, v13, vcc
	v_cmp_nlt_f32_e32 vcc, s17, v9
	v_cndmask_b32_e32 v12, v5, v12, vcc
	v_cmp_nlt_f32_e32 vcc, s17, v11
	v_cndmask_b32_e32 v13, v5, v13, vcc
	v_cmp_le_f32_e32 vcc, s23, v9
	v_cndmask_b32_e32 v12, 0, v12, vcc
	v_cmp_le_f32_e32 vcc, s23, v11
	v_cndmask_b32_e32 v11, 0, v13, vcc
	v_mul_f32_e32 v9, s9, v11
	v_fmac_f32_e32 v9, v6, v12
	s_waitcnt vmcnt(0)
	v_mul_f32_e32 v10, v10, v11
	v_fmac_f32_e32 v10, v3, v12
	s_cbranch_execnz .LBB19_13
.LBB19_17:
	s_add_i32 s5, s24, -1
	s_mov_b32 s7, s10
	v_mov_b32_e32 v9, v6
	v_mov_b32_e32 v8, v7
	s_waitcnt vmcnt(0)
	v_mov_b32_e32 v10, v3
	s_cbranch_execz .LBB19_22
.LBB19_18:
	s_mov_b32 s10, s7
	s_mov_b32 s24, s5
	v_mov_b32_e32 v6, v9
	v_mov_b32_e32 v7, v8
	s_waitcnt vmcnt(0)
	v_mov_b32_e32 v3, v10
	s_mul_hi_i32 s5, s24, s3
	s_cmp_lg_u64 s[4:5], 0
	s_mul_i32 s8, s24, s3
	s_cbranch_scc1 .LBB19_9
.LBB19_19:
                                        ; implicit-def: $sgpr6_sgpr7
	s_branch .LBB19_10
.LBB19_20:
                                        ; implicit-def: $sgpr10_sgpr11
	s_load_dwordx4 s[12:15], s[4:5], 0x44
	s_branch .LBB19_2
.LBB19_21:
                                        ; implicit-def: $sgpr18_sgpr19
	s_branch .LBB19_5
.LBB19_22:
	v_div_scale_f32 v0, s[0:1], v9, v9, v10
	s_waitcnt vmcnt(0)
	v_div_scale_f32 v3, vcc, v10, v9, v10
	v_rcp_f32_e32 v4, v0
	v_fma_f32 v5, -v0, v4, 1.0
	v_fmac_f32_e32 v4, v5, v4
	v_mul_f32_e32 v5, v3, v4
	v_fma_f32 v6, -v0, v5, v3
	v_fmac_f32_e32 v5, v6, v4
	v_fma_f32 v0, -v0, v5, v3
	v_div_fmas_f32 v0, v0, v4, v5
	v_div_fixup_f32 v0, v0, v9, v10
	global_store_dword v[1:2], v0, off
.LBB19_23:
	s_endpgm
	.section	.rodata,"a",@progbits
	.p2align	6, 0x0
	.amdhsa_kernel _ZL33flash_attn_stream_k_fixup_generalILi512ELi2ELi4EEvPfPK15HIP_vector_typeIfLj2EEiiiiS1_IjLj3EES5_S5_S5_
		.amdhsa_group_segment_fixed_size 0
		.amdhsa_private_segment_fixed_size 0
		.amdhsa_kernarg_size 336
		.amdhsa_user_sgpr_count 6
		.amdhsa_user_sgpr_private_segment_buffer 1
		.amdhsa_user_sgpr_dispatch_ptr 0
		.amdhsa_user_sgpr_queue_ptr 0
		.amdhsa_user_sgpr_kernarg_segment_ptr 1
		.amdhsa_user_sgpr_dispatch_id 0
		.amdhsa_user_sgpr_flat_scratch_init 0
		.amdhsa_user_sgpr_private_segment_size 0
		.amdhsa_uses_dynamic_stack 0
		.amdhsa_system_sgpr_private_segment_wavefront_offset 0
		.amdhsa_system_sgpr_workgroup_id_x 1
		.amdhsa_system_sgpr_workgroup_id_y 1
		.amdhsa_system_sgpr_workgroup_id_z 1
		.amdhsa_system_sgpr_workgroup_info 0
		.amdhsa_system_vgpr_workitem_id 0
		.amdhsa_next_free_vgpr 18
		.amdhsa_next_free_sgpr 36
		.amdhsa_reserve_vcc 1
		.amdhsa_reserve_flat_scratch 0
		.amdhsa_float_round_mode_32 0
		.amdhsa_float_round_mode_16_64 0
		.amdhsa_float_denorm_mode_32 3
		.amdhsa_float_denorm_mode_16_64 3
		.amdhsa_dx10_clamp 1
		.amdhsa_ieee_mode 1
		.amdhsa_fp16_overflow 0
		.amdhsa_exception_fp_ieee_invalid_op 0
		.amdhsa_exception_fp_denorm_src 0
		.amdhsa_exception_fp_ieee_div_zero 0
		.amdhsa_exception_fp_ieee_overflow 0
		.amdhsa_exception_fp_ieee_underflow 0
		.amdhsa_exception_fp_ieee_inexact 0
		.amdhsa_exception_int_div_zero 0
	.end_amdhsa_kernel
	.section	.text._ZL33flash_attn_stream_k_fixup_generalILi512ELi2ELi4EEvPfPK15HIP_vector_typeIfLj2EEiiiiS1_IjLj3EES5_S5_S5_,"axG",@progbits,_ZL33flash_attn_stream_k_fixup_generalILi512ELi2ELi4EEvPfPK15HIP_vector_typeIfLj2EEiiiiS1_IjLj3EES5_S5_S5_,comdat
.Lfunc_end19:
	.size	_ZL33flash_attn_stream_k_fixup_generalILi512ELi2ELi4EEvPfPK15HIP_vector_typeIfLj2EEiiiiS1_IjLj3EES5_S5_S5_, .Lfunc_end19-_ZL33flash_attn_stream_k_fixup_generalILi512ELi2ELi4EEvPfPK15HIP_vector_typeIfLj2EEiiiiS1_IjLj3EES5_S5_S5_
                                        ; -- End function
	.set _ZL33flash_attn_stream_k_fixup_generalILi512ELi2ELi4EEvPfPK15HIP_vector_typeIfLj2EEiiiiS1_IjLj3EES5_S5_S5_.num_vgpr, 18
	.set _ZL33flash_attn_stream_k_fixup_generalILi512ELi2ELi4EEvPfPK15HIP_vector_typeIfLj2EEiiiiS1_IjLj3EES5_S5_S5_.num_agpr, 0
	.set _ZL33flash_attn_stream_k_fixup_generalILi512ELi2ELi4EEvPfPK15HIP_vector_typeIfLj2EEiiiiS1_IjLj3EES5_S5_S5_.numbered_sgpr, 36
	.set _ZL33flash_attn_stream_k_fixup_generalILi512ELi2ELi4EEvPfPK15HIP_vector_typeIfLj2EEiiiiS1_IjLj3EES5_S5_S5_.num_named_barrier, 0
	.set _ZL33flash_attn_stream_k_fixup_generalILi512ELi2ELi4EEvPfPK15HIP_vector_typeIfLj2EEiiiiS1_IjLj3EES5_S5_S5_.private_seg_size, 0
	.set _ZL33flash_attn_stream_k_fixup_generalILi512ELi2ELi4EEvPfPK15HIP_vector_typeIfLj2EEiiiiS1_IjLj3EES5_S5_S5_.uses_vcc, 1
	.set _ZL33flash_attn_stream_k_fixup_generalILi512ELi2ELi4EEvPfPK15HIP_vector_typeIfLj2EEiiiiS1_IjLj3EES5_S5_S5_.uses_flat_scratch, 0
	.set _ZL33flash_attn_stream_k_fixup_generalILi512ELi2ELi4EEvPfPK15HIP_vector_typeIfLj2EEiiiiS1_IjLj3EES5_S5_S5_.has_dyn_sized_stack, 0
	.set _ZL33flash_attn_stream_k_fixup_generalILi512ELi2ELi4EEvPfPK15HIP_vector_typeIfLj2EEiiiiS1_IjLj3EES5_S5_S5_.has_recursion, 0
	.set _ZL33flash_attn_stream_k_fixup_generalILi512ELi2ELi4EEvPfPK15HIP_vector_typeIfLj2EEiiiiS1_IjLj3EES5_S5_S5_.has_indirect_call, 0
	.section	.AMDGPU.csdata,"",@progbits
; Kernel info:
; codeLenInByte = 2940
; TotalNumSgprs: 40
; NumVgprs: 18
; ScratchSize: 0
; MemoryBound: 0
; FloatMode: 240
; IeeeMode: 1
; LDSByteSize: 0 bytes/workgroup (compile time only)
; SGPRBlocks: 4
; VGPRBlocks: 4
; NumSGPRsForWavesPerEU: 40
; NumVGPRsForWavesPerEU: 18
; Occupancy: 10
; WaveLimiterHint : 0
; COMPUTE_PGM_RSRC2:SCRATCH_EN: 0
; COMPUTE_PGM_RSRC2:USER_SGPR: 6
; COMPUTE_PGM_RSRC2:TRAP_HANDLER: 0
; COMPUTE_PGM_RSRC2:TGID_X_EN: 1
; COMPUTE_PGM_RSRC2:TGID_Y_EN: 1
; COMPUTE_PGM_RSRC2:TGID_Z_EN: 1
; COMPUTE_PGM_RSRC2:TIDIG_COMP_CNT: 0
	.section	.text._ZL15flash_attn_tileILi576ELi512ELi1ELi4ELb0EEvPKcS1_S1_S1_S1_PKiPfP15HIP_vector_typeIfLj2EEffffjfiS5_IjLj3EEiiiiiiiiiiiliiliiiiil,"axG",@progbits,_ZL15flash_attn_tileILi576ELi512ELi1ELi4ELb0EEvPKcS1_S1_S1_S1_PKiPfP15HIP_vector_typeIfLj2EEffffjfiS5_IjLj3EEiiiiiiiiiiiliiliiiiil,comdat
	.globl	_ZL15flash_attn_tileILi576ELi512ELi1ELi4ELb0EEvPKcS1_S1_S1_S1_PKiPfP15HIP_vector_typeIfLj2EEffffjfiS5_IjLj3EEiiiiiiiiiiiliiliiiiil ; -- Begin function _ZL15flash_attn_tileILi576ELi512ELi1ELi4ELb0EEvPKcS1_S1_S1_S1_PKiPfP15HIP_vector_typeIfLj2EEffffjfiS5_IjLj3EEiiiiiiiiiiiliiliiiiil
	.p2align	8
	.type	_ZL15flash_attn_tileILi576ELi512ELi1ELi4ELb0EEvPKcS1_S1_S1_S1_PKiPfP15HIP_vector_typeIfLj2EEffffjfiS5_IjLj3EEiiiiiiiiiiiliiliiiiil,@function
_ZL15flash_attn_tileILi576ELi512ELi1ELi4ELb0EEvPKcS1_S1_S1_S1_PKiPfP15HIP_vector_typeIfLj2EEffffjfiS5_IjLj3EEiiiiiiiiiiiliiliiiiil: ; @_ZL15flash_attn_tileILi576ELi512ELi1ELi4ELb0EEvPKcS1_S1_S1_S1_PKiPfP15HIP_vector_typeIfLj2EEffffjfiS5_IjLj3EEiiiiiiiiiiiliiliiiiil
; %bb.0:
	s_load_dwordx4 s[24:27], s[4:5], 0x5c
	s_load_dwordx2 s[28:29], s[4:5], 0x80
	s_mov_b64 s[42:43], s[2:3]
	s_mov_b64 s[40:41], s[0:1]
	s_add_u32 s40, s40, s9
	s_addc_u32 s41, s41, 0
	s_waitcnt lgkmcnt(0)
	s_ashr_i32 s0, s27, 31
	s_lshr_b32 s0, s0, 30
	s_add_i32 s0, s27, s0
	s_ashr_i32 s0, s0, 2
	v_cvt_f32_u32_e32 v2, s0
	s_sub_i32 s1, 0, s0
	s_load_dwordx2 s[34:35], s[4:5], 0xb8
	s_mov_b64 s[30:31], 0
	v_rcp_iflag_f32_e32 v2, v2
	v_mul_f32_e32 v2, 0x4f7ffffe, v2
	v_cvt_u32_f32_e32 v2, v2
	v_readfirstlane_b32 s2, v2
	s_mul_i32 s1, s1, s2
	s_mul_hi_u32 s1, s2, s1
	s_add_i32 s2, s2, s1
	s_mul_hi_u32 s1, s8, s2
	s_mul_i32 s2, s1, s0
	s_sub_i32 s2, s8, s2
	s_add_i32 s3, s1, 1
	s_sub_i32 s9, s2, s0
	s_cmp_ge_u32 s2, s0
	s_cselect_b32 s1, s3, s1
	s_cselect_b32 s2, s9, s2
	s_add_i32 s3, s1, 1
	s_cmp_ge_u32 s2, s0
	s_cselect_b32 s33, s3, s1
	s_abs_i32 s0, s29
	v_cvt_f32_u32_e32 v2, s0
	s_lshl_b32 s1, s8, 2
	s_mul_i32 s8, s33, s27
	s_xor_b32 s2, s27, s29
	v_rcp_iflag_f32_e32 v2, v2
	s_sub_i32 s9, 0, s0
	s_sub_i32 s29, s1, s8
	s_abs_i32 s3, s27
	v_mul_f32_e32 v2, 0x4f7ffffe, v2
	v_cvt_u32_f32_e32 v2, v2
	s_ashr_i32 s2, s2, 31
	v_readfirstlane_b32 s1, v2
	s_mul_i32 s9, s9, s1
	s_mul_hi_u32 s8, s1, s9
	s_add_i32 s1, s1, s8
	s_mul_hi_u32 s1, s3, s1
	s_mul_i32 s8, s1, s0
	s_sub_i32 s3, s3, s8
	s_add_i32 s9, s1, 1
	s_sub_i32 s8, s3, s0
	s_cmp_ge_u32 s3, s0
	s_cselect_b32 s1, s9, s1
	s_cselect_b32 s3, s8, s3
	s_add_i32 s8, s1, 1
	s_cmp_ge_u32 s3, s0
	s_cselect_b32 s0, s8, s1
	s_xor_b32 s0, s0, s2
	s_sub_i32 s37, s0, s2
	s_abs_i32 s36, s37
	v_cvt_f32_u32_e32 v2, s36
	s_load_dwordx16 s[8:23], s[4:5], 0x0
	v_rcp_iflag_f32_e32 v2, v2
	s_waitcnt lgkmcnt(0)
	s_cmp_eq_u64 s[14:15], 0
	v_mul_f32_e32 v2, 0x4f7ffffe, v2
	v_cvt_u32_f32_e32 v2, v2
	v_readfirstlane_b32 s38, v2
	s_cbranch_scc1 .LBB20_2
; %bb.1:
	s_abs_i32 s2, s34
	v_cvt_f32_u32_e32 v2, s2
	s_sub_i32 s31, 0, s2
	s_abs_i32 s30, s33
	s_ashr_i32 s3, s33, 31
	v_rcp_iflag_f32_e32 v2, v2
	s_load_dwordx2 s[0:1], s[4:5], 0xc8
	v_mul_f32_e32 v2, 0x4f7ffffe, v2
	v_cvt_u32_f32_e32 v2, v2
	v_readfirstlane_b32 s34, v2
	s_mul_i32 s31, s31, s34
	s_mul_hi_u32 s31, s34, s31
	s_add_i32 s34, s34, s31
	s_mul_hi_u32 s31, s30, s34
	s_mul_i32 s31, s31, s2
	s_sub_i32 s30, s30, s31
	s_sub_i32 s31, s30, s2
	s_cmp_ge_u32 s30, s2
	s_cselect_b32 s30, s31, s30
	s_sub_i32 s31, s30, s2
	s_cmp_ge_u32 s30, s2
	s_cselect_b32 s2, s31, s30
	s_xor_b32 s2, s2, s3
	s_sub_i32 s2, s2, s3
	s_ashr_i32 s3, s2, 31
	s_waitcnt lgkmcnt(0)
	s_mul_hi_u32 s30, s0, s2
	s_mul_i32 s3, s0, s3
	s_mul_i32 s1, s1, s2
	s_add_i32 s3, s30, s3
	s_add_i32 s3, s3, s1
	s_mul_i32 s0, s0, s2
	s_add_u32 s30, s14, s0
	s_addc_u32 s31, s15, s3
.LBB20_2:
	s_load_dwordx4 s[0:3], s[4:5], 0x70
	v_lshrrev_b32_e32 v2, 2, v1
	v_add_u32_e32 v72, s6, v2
	v_mul_hi_u32 v4, s24, v72
	v_and_b32_e32 v22, 3, v1
	s_waitcnt lgkmcnt(0)
	s_mul_i32 s2, s33, s2
	s_ashr_i32 s14, s2, 31
	s_mul_i32 s3, s29, s1
	s_add_u32 s2, s8, s2
	v_add_u32_e32 v4, v72, v4
	s_addc_u32 s8, s9, s14
	s_ashr_i32 s9, s3, 31
	v_lshrrev_b32_e32 v4, s25, v4
	s_add_u32 s14, s2, s3
	v_mul_lo_u32 v4, v4, s26
	s_addc_u32 s15, s8, s9
	s_ashr_i32 s3, s1, 31
	s_mov_b32 s2, s1
	s_lshr_b64 s[8:9], s[2:3], 2
	v_mad_u64_u32 v[2:3], s[8:9], s8, v22, 0
	s_ashr_i32 s1, s0, 31
	v_sub_u32_e32 v4, v72, v4
	s_lshr_b64 s[8:9], s[0:1], 2
	v_mad_u64_u32 v[5:6], s[8:9], s8, v4, 0
	s_lshr_b32 s0, s3, 2
	v_mad_u64_u32 v[7:8], s[2:3], s0, v22, v[3:4]
	v_mov_b32_e32 v3, v6
	s_lshr_b32 s0, s1, 2
	v_mad_u64_u32 v[8:9], s[0:1], s0, v4, v[3:4]
	v_mov_b32_e32 v3, v7
	v_lshlrev_b64 v[2:3], 2, v[2:3]
	v_mov_b32_e32 v6, v8
	v_mov_b32_e32 v7, s15
	v_add_co_u32_e32 v8, vcc, s14, v2
	v_addc_co_u32_e32 v7, vcc, v7, v3, vcc
	v_lshlrev_b64 v[2:3], 2, v[5:6]
	v_lshlrev_b32_e32 v5, 4, v0
	v_add_co_u32_e32 v2, vcc, v8, v2
	v_addc_co_u32_e32 v3, vcc, v7, v3, vcc
	v_add_co_u32_e32 v2, vcc, v2, v5
	v_addc_co_u32_e32 v3, vcc, 0, v3, vcc
	global_load_dwordx4 v[6:9], v[2:3], off
	global_load_dwordx4 v[10:13], v[2:3], off offset:512
	global_load_dwordx4 v[14:17], v[2:3], off offset:1024
	;; [unrolled: 1-line block ×3, first 2 shown]
	s_load_dword s2, s[4:5], 0x40
	s_movk_i32 s0, 0x480
	v_mov_b32_e32 v5, 0x2400
	v_lshlrev_b32_e32 v75, 3, v0
	v_mad_u32_u24 v76, v1, s0, v5
	v_add_u32_e32 v5, v76, v75
	v_cmp_gt_u32_e32 vcc, 16, v0
	s_waitcnt vmcnt(3) lgkmcnt(0)
	v_fma_mixlo_f16 v6, s2, v6, 0
	v_fma_mixlo_f16 v7, s2, v7, 0
	;; [unrolled: 1-line block ×4, first 2 shown]
	s_waitcnt vmcnt(2)
	v_fma_mixlo_f16 v10, s2, v10, 0
	v_fma_mixlo_f16 v11, s2, v11, 0
	;; [unrolled: 1-line block ×4, first 2 shown]
	s_waitcnt vmcnt(1)
	v_fma_mixlo_f16 v14, s2, v14, 0
	v_fma_mixlo_f16 v15, s2, v15, 0
	s_waitcnt vmcnt(0)
	v_fma_mixlo_f16 v18, s2, v18, 0
	v_fma_mixlo_f16 v19, s2, v19, 0
	v_lshlrev_b32_e32 v7, 16, v7
	v_and_b32_e32 v6, 0xffff, v6
	v_lshlrev_b32_e32 v9, 16, v9
	v_and_b32_e32 v8, 0xffff, v8
	;; [unrolled: 2-line block ×3, first 2 shown]
	v_fma_mixlo_f16 v16, s2, v16, 0
	v_fma_mixlo_f16 v17, s2, v17, 0
	;; [unrolled: 1-line block ×4, first 2 shown]
	v_lshlrev_b32_e32 v13, 16, v13
	v_and_b32_e32 v12, 0xffff, v12
	v_lshlrev_b32_e32 v15, 16, v15
	v_and_b32_e32 v14, 0xffff, v14
	;; [unrolled: 2-line block ×3, first 2 shown]
	v_or_b32_e32 v6, v7, v6
	v_or3_b32 v7, v9, v8, 0
	v_or_b32_e32 v8, v11, v10
	v_lshlrev_b32_e32 v17, 16, v17
	v_and_b32_e32 v16, 0xffff, v16
	v_lshlrev_b32_e32 v21, 16, v21
	v_and_b32_e32 v20, 0xffff, v20
	v_or3_b32 v9, v13, v12, 0
	v_or_b32_e32 v10, v15, v14
	v_or_b32_e32 v12, v19, v18
	v_or3_b32 v6, 0, 0, v6
	v_or3_b32 v8, 0, 0, v8
	;; [unrolled: 1-line block ×6, first 2 shown]
	ds_write2_b64 v5, v[6:7], v[8:9] offset1:32
	ds_write2_b64 v5, v[10:11], v[12:13] offset0:64 offset1:96
	s_and_saveexec_b64 s[0:1], vcc
	s_cbranch_execz .LBB20_4
; %bb.3:
	global_load_dwordx4 v[6:9], v[2:3], off offset:2048
	s_waitcnt vmcnt(0)
	v_fma_mixlo_f16 v2, s2, v6, 0
	v_fma_mixlo_f16 v3, s2, v7, 0
	;; [unrolled: 1-line block ×4, first 2 shown]
	v_lshlrev_b32_e32 v3, 16, v3
	v_and_b32_e32 v2, 0xffff, v2
	v_lshlrev_b32_e32 v7, 16, v7
	v_and_b32_e32 v6, 0xffff, v6
	v_or_b32_e32 v2, v3, v2
	v_or3_b32 v3, v7, v6, 0
	v_or3_b32 v2, 0, 0, v2
	ds_write_b64 v5, v[2:3] offset:1024
.LBB20_4:
	s_or_b64 exec, exec, s[0:1]
	s_cmp_eq_u64 s[18:19], 0
	s_waitcnt lgkmcnt(0)
	s_barrier
	s_cbranch_scc1 .LBB20_6
; %bb.5:
	s_load_dword s0, s[4:5], 0xd0
	s_mov_b32 s1, 0
	s_waitcnt lgkmcnt(0)
	s_mul_i32 s0, s0, s33
	s_add_i32 s0, s0, s6
	s_lshl_b64 s[0:1], s[0:1], 2
	s_add_u32 s0, s18, s0
	s_addc_u32 s1, s19, s1
	s_load_dword s28, s[0:1], 0x0
.LBB20_6:
	s_lshl_b32 s6, s7, 6
	v_lshlrev_b32_e32 v19, 2, v0
	s_waitcnt lgkmcnt(0)
	s_cmp_lt_i32 s6, s28
	v_mbcnt_lo_u32_b32 v2, -1, 0
	s_cbranch_scc1 .LBB20_9
; %bb.7:
	v_mbcnt_hi_u32_b32 v77, -1, v2
	v_and_b32_e32 v3, 0x60, v77
	v_add_u32_e32 v78, 32, v3
	v_xor_b32_e32 v83, 16, v77
	v_xor_b32_e32 v82, 8, v77
	v_xor_b32_e32 v81, 4, v77
	v_xor_b32_e32 v79, 2, v77
	v_xor_b32_e32 v80, 1, v77
	s_cbranch_execz .LBB20_10
; %bb.8:
	v_mov_b32_e32 v107, 0
	v_mov_b32_e32 v2, 0
	;; [unrolled: 1-line block ×10, first 2 shown]
	s_branch .LBB20_13
.LBB20_9:
                                        ; implicit-def: $vgpr77
                                        ; implicit-def: $vgpr78
                                        ; implicit-def: $vgpr83
                                        ; implicit-def: $vgpr82
                                        ; implicit-def: $vgpr81
                                        ; implicit-def: $vgpr79
                                        ; implicit-def: $vgpr80
.LBB20_10:
	s_sub_i32 s0, 0, s36
	s_mul_i32 s0, s0, s38
	buffer_store_dword v22, off, s[40:43], 0 ; 4-byte Folded Spill
	s_mul_hi_u32 s0, s38, s0
	s_add_i32 s38, s38, s0
	s_load_dwordx2 s[8:9], s[4:5], 0x8c
	s_load_dwordx4 s[0:3], s[4:5], 0x98
	s_abs_i32 s18, s29
	s_mul_hi_u32 s19, s18, s38
	s_ashr_i32 s34, s29, 31
	s_waitcnt lgkmcnt(0)
	s_ashr_i32 s15, s8, 2
	s_ashr_i32 s8, s33, 31
	s_mul_hi_u32 s38, s0, s33
	s_mul_i32 s39, s0, s8
	s_add_i32 s38, s38, s39
	s_mul_i32 s1, s1, s33
	s_ashr_i32 s37, s37, 31
	s_ashr_i32 s14, s2, 2
	;; [unrolled: 1-line block ×3, first 2 shown]
	s_add_i32 s38, s38, s1
	s_mul_i32 s0, s0, s33
	s_add_u32 s0, s10, s0
	s_addc_u32 s1, s11, s38
	s_mul_i32 s11, s19, s36
	s_sub_i32 s11, s18, s11
	s_xor_b32 s10, s34, s37
	s_add_i32 s18, s19, 1
	s_sub_i32 s34, s11, s36
	s_cmp_ge_u32 s11, s36
	s_cselect_b32 s18, s18, s19
	s_cselect_b32 s11, s34, s11
	s_add_i32 s19, s18, 1
	s_cmp_ge_u32 s11, s36
	s_cselect_b32 s11, s19, s18
	s_load_dwordx2 s[24:25], s[4:5], 0xa8
	s_xor_b32 s11, s11, s10
	s_sub_i32 s10, s11, s10
	s_mul_i32 s9, s10, s9
	s_ashr_i32 s11, s9, 31
	s_add_u32 s18, s0, s9
	s_addc_u32 s19, s1, s11
	s_waitcnt lgkmcnt(0)
	s_mul_hi_u32 s0, s24, s33
	s_mul_i32 s1, s24, s8
	s_add_i32 s0, s0, s1
	s_mul_i32 s1, s25, s33
	s_add_i32 s0, s0, s1
	s_mul_i32 s1, s24, s33
	v_lshrrev_b32_e32 v3, 3, v0
	s_add_u32 s1, s12, s1
	s_mul_i32 s10, s10, s3
	v_lshl_add_u32 v3, v1, 2, v3
	s_addc_u32 s0, s13, s0
	s_ashr_i32 s3, s10, 31
	v_mul_lo_u32 v5, s15, v3
	s_add_u32 s12, s1, s10
	v_and_b32_e32 v15, 28, v19
	s_addc_u32 s13, s0, s3
	v_lshlrev_b32_e32 v6, 2, v15
	s_movk_i32 s0, 0x90
	v_mad_u32_u24 v84, v3, s0, v6
	s_lshl_b32 s0, s15, 4
	v_mov_b32_e32 v3, 0x3600
	v_add_u32_e32 v7, s0, v5
	v_lshl_add_u32 v89, v1, 7, v3
	v_mul_lo_u32 v3, s14, v1
	v_add_u32_e32 v9, s0, v7
	v_add_u32_e32 v11, s0, v9
	v_mad_u64_u32 v[17:18], s[0:1], v4, s35, v[0:1]
	s_and_b32 s0, s2, -4
	v_add_u32_e32 v13, s0, v3
	v_ashrrev_i32_e32 v6, 31, v5
	v_ashrrev_i32_e32 v8, 31, v7
	;; [unrolled: 1-line block ×4, first 2 shown]
	v_lshlrev_b32_e32 v91, 2, v19
	v_ashrrev_i32_e32 v4, 31, v3
	v_ashrrev_i32_e32 v14, 31, v13
	v_mbcnt_hi_u32_b32 v77, -1, v2
	v_lshl_add_u32 v92, v1, 10, v91
	s_add_u32 s10, s4, 0xd0
	v_lshlrev_b64 v[18:19], 2, v[5:6]
	v_lshlrev_b64 v[20:21], 2, v[7:8]
	;; [unrolled: 1-line block ×4, first 2 shown]
	v_and_b32_e32 v2, 0x60, v77
	v_lshlrev_b64 v[26:27], 2, v[3:4]
	v_lshlrev_b64 v[28:29], 2, v[13:14]
	v_mov_b32_e32 v102, 0
	v_add_u32_e32 v85, 0x900, v84
	v_add_u32_e32 v86, 0x1200, v84
	;; [unrolled: 1-line block ×3, first 2 shown]
	v_mul_u32_u24_e32 v88, 0x90, v0
	v_lshl_add_u32 v90, v0, 1, v89
	v_add_u32_e32 v93, 0x200, v92
	v_add_u32_e32 v94, 0x1000, v92
	;; [unrolled: 1-line block ×3, first 2 shown]
	s_addc_u32 s11, s5, 0
	v_mov_b32_e32 v1, 0xfeffffff
	v_lshlrev_b32_e32 v96, 2, v15
	v_add_u32_e32 v78, 32, v2
	v_xor_b32_e32 v83, 16, v77
	v_xor_b32_e32 v82, 8, v77
	;; [unrolled: 1-line block ×5, first 2 shown]
	v_mov_b32_e32 v97, s31
	s_mov_b32 s24, 0x3fb8aa3b
	s_mov_b32 s25, 0xc2ce8ed0
	;; [unrolled: 1-line block ×3, first 2 shown]
	v_mov_b32_e32 v98, 0x7f800000
	s_mov_b32 s34, 0x10001
	v_add_u32_e32 v99, 0x800, v75
	v_add_u32_e32 v100, 0x1000, v75
	;; [unrolled: 1-line block ×3, first 2 shown]
	v_mov_b32_e32 v103, 0
	v_mov_b32_e32 v105, 0
	;; [unrolled: 1-line block ×8, first 2 shown]
.LBB20_11:                              ; =>This Inner Loop Header: Depth=1
	v_cmp_lt_i32_e32 vcc, v83, v78
	v_mov_b32_e32 v110, v1
	s_mul_hi_i32 s1, s6, s15
	s_mul_i32 s0, s6, s15
	v_add_u32_e32 v1, s6, v17
	v_cndmask_b32_e32 v3, v77, v83, vcc
	v_cmp_lt_i32_e32 vcc, v82, v78
	v_cndmask_b32_e32 v4, v77, v82, vcc
	v_cmp_lt_i32_e32 vcc, v81, v78
	v_mov_b32_e32 v113, v2
	s_lshl_b64 s[0:1], s[0:1], 2
	v_ashrrev_i32_e32 v2, 31, v1
	v_cndmask_b32_e32 v5, v77, v81, vcc
	v_cmp_lt_i32_e32 vcc, v79, v78
	s_add_u32 s35, s18, s0
	v_lshlrev_b64 v[1:2], 1, v[1:2]
	v_cndmask_b32_e32 v6, v77, v79, vcc
	s_addc_u32 s8, s19, s1
	v_lshlrev_b32_e32 v118, 2, v3
	v_lshlrev_b32_e32 v117, 2, v4
	v_lshlrev_b32_e32 v115, 2, v6
	v_mov_b32_e32 v3, s8
	v_mov_b32_e32 v4, s8
	;; [unrolled: 1-line block ×4, first 2 shown]
	v_add_co_u32_e64 v30, s[8:9], s30, v1
	v_cmp_lt_i32_e32 vcc, v80, v78
	v_addc_co_u32_e64 v31, s[8:9], v97, v2, s[8:9]
	v_cndmask_b32_e32 v7, v77, v80, vcc
	s_mul_hi_i32 s3, s6, s14
	s_mul_i32 s2, s6, s14
	v_lshlrev_b32_e32 v116, 2, v5
	v_add_co_u32_e32 v5, vcc, s35, v20
	v_add_co_u32_e64 v1, s[8:9], s35, v18
	v_lshlrev_b32_e32 v114, 2, v7
	s_lshl_b64 s[36:37], s[2:3], 2
	v_add_co_u32_e64 v7, s[0:1], s35, v22
	v_add_co_u32_e64 v9, s[2:3], s35, v24
	v_addc_co_u32_e64 v2, s[8:9], v3, v19, s[8:9]
	v_addc_co_u32_e32 v3, vcc, v4, v21, vcc
	v_add_co_u32_e32 v32, vcc, v5, v96
	v_addc_co_u32_e64 v4, s[0:1], v6, v23, s[0:1]
	v_addc_co_u32_e64 v5, s[2:3], v8, v25, s[2:3]
	v_add_co_u32_e64 v50, s[8:9], v1, v96
	v_add_co_u32_e64 v34, s[0:1], v7, v96
	;; [unrolled: 1-line block ×3, first 2 shown]
	v_addc_co_u32_e64 v51, s[8:9], 0, v2, s[8:9]
	v_addc_co_u32_e32 v33, vcc, 0, v3, vcc
	v_addc_co_u32_e64 v35, vcc, 0, v4, s[0:1]
	v_addc_co_u32_e64 v37, vcc, 0, v5, s[2:3]
	global_load_dwordx4 v[1:4], v[50:51], off
	global_load_dwordx4 v[5:8], v[32:33], off
	;; [unrolled: 1-line block ×4, first 2 shown]
	v_mov_b32_e32 v111, 0
	v_mov_b32_e32 v112, 0
	s_add_u32 s36, s12, s36
	s_addc_u32 s35, s13, s37
	v_mov_b32_e32 v38, s35
	v_add_co_u32_e32 v39, vcc, s36, v26
	v_mov_b32_e32 v40, s35
	v_add_co_u32_e64 v41, s[0:1], s36, v28
	v_addc_co_u32_e32 v42, vcc, v38, v27, vcc
	v_addc_co_u32_e64 v43, vcc, v40, v29, s[0:1]
	v_add_co_u32_e64 v40, s[0:1], v39, v91
	v_add_co_u32_e32 v38, vcc, v41, v91
	v_addc_co_u32_e64 v41, s[0:1], 0, v42, s[0:1]
	v_addc_co_u32_e32 v39, vcc, 0, v43, vcc
	s_waitcnt vmcnt(3)
	ds_write_b128 v84, v[1:4]
	s_waitcnt vmcnt(2)
	ds_write_b128 v85, v[5:8]
	;; [unrolled: 2-line block ×4, first 2 shown]
	s_waitcnt lgkmcnt(0)
	s_barrier
	ds_read_b128 v[1:4], v88
	ds_read_b128 v[5:8], v76
	ds_read_b128 v[9:12], v88 offset:4608
	s_waitcnt lgkmcnt(1)
	;;#ASMSTART
	v_dot2_f32_f16 v111, v1, v5, v111
	;;#ASMEND
	;;#ASMSTART
	v_dot2_f32_f16 v111, v2, v6, v111
	;;#ASMEND
	;;#ASMSTART
	v_dot2_f32_f16 v111, v3, v7, v111
	;;#ASMEND
	;;#ASMSTART
	v_dot2_f32_f16 v111, v4, v8, v111
	;;#ASMEND
	s_waitcnt lgkmcnt(0)
	;;#ASMSTART
	v_dot2_f32_f16 v112, v9, v5, v112
	;;#ASMEND
	;;#ASMSTART
	v_dot2_f32_f16 v112, v10, v6, v112
	;;#ASMEND
	;;#ASMSTART
	v_dot2_f32_f16 v112, v11, v7, v112
	;;#ASMEND
	;;#ASMSTART
	v_dot2_f32_f16 v112, v12, v8, v112
	;;#ASMEND
	ds_read_b128 v[1:4], v88 offset:16
	ds_read_b128 v[5:8], v76 offset:16
	ds_read_b128 v[9:12], v88 offset:4624
	s_waitcnt lgkmcnt(1)
	;;#ASMSTART
	v_dot2_f32_f16 v111, v1, v5, v111
	;;#ASMEND
	;;#ASMSTART
	v_dot2_f32_f16 v111, v2, v6, v111
	;;#ASMEND
	;;#ASMSTART
	v_dot2_f32_f16 v111, v3, v7, v111
	;;#ASMEND
	;;#ASMSTART
	v_dot2_f32_f16 v111, v4, v8, v111
	;;#ASMEND
	s_waitcnt lgkmcnt(0)
	;;#ASMSTART
	v_dot2_f32_f16 v112, v9, v5, v112
	;;#ASMEND
	;;#ASMSTART
	v_dot2_f32_f16 v112, v10, v6, v112
	;;#ASMEND
	;;#ASMSTART
	v_dot2_f32_f16 v112, v11, v7, v112
	;;#ASMEND
	;;#ASMSTART
	v_dot2_f32_f16 v112, v12, v8, v112
	;;#ASMEND
	ds_read_b128 v[1:4], v88 offset:32
	ds_read_b128 v[5:8], v76 offset:32
	;; [unrolled: 29-line block ×7, first 2 shown]
	ds_read_b128 v[9:12], v88 offset:4720
	s_waitcnt lgkmcnt(1)
	;;#ASMSTART
	v_dot2_f32_f16 v111, v1, v5, v111
	;;#ASMEND
	;;#ASMSTART
	v_dot2_f32_f16 v111, v2, v6, v111
	;;#ASMEND
	;; [unrolled: 3-line block ×4, first 2 shown]
	s_waitcnt lgkmcnt(0)
	;;#ASMSTART
	v_dot2_f32_f16 v112, v9, v5, v112
	;;#ASMEND
	;;#ASMSTART
	v_dot2_f32_f16 v112, v10, v6, v112
	;;#ASMEND
	;; [unrolled: 3-line block ×4, first 2 shown]
	s_barrier
	global_load_dwordx4 v[1:4], v[50:51], off offset:128
	global_load_dwordx4 v[5:8], v[32:33], off offset:128
	;; [unrolled: 1-line block ×4, first 2 shown]
	s_waitcnt vmcnt(3)
	ds_write_b128 v84, v[1:4]
	s_waitcnt vmcnt(2)
	ds_write_b128 v85, v[5:8]
	;; [unrolled: 2-line block ×4, first 2 shown]
	s_waitcnt lgkmcnt(0)
	s_barrier
	ds_read_b128 v[1:4], v88
	ds_read_b128 v[5:8], v76 offset:128
	ds_read_b128 v[9:12], v88 offset:4608
	s_waitcnt lgkmcnt(1)
	;;#ASMSTART
	v_dot2_f32_f16 v111, v1, v5, v111
	;;#ASMEND
	;;#ASMSTART
	v_dot2_f32_f16 v111, v2, v6, v111
	;;#ASMEND
	;;#ASMSTART
	v_dot2_f32_f16 v111, v3, v7, v111
	;;#ASMEND
	;;#ASMSTART
	v_dot2_f32_f16 v111, v4, v8, v111
	;;#ASMEND
	s_waitcnt lgkmcnt(0)
	;;#ASMSTART
	v_dot2_f32_f16 v112, v9, v5, v112
	;;#ASMEND
	;;#ASMSTART
	v_dot2_f32_f16 v112, v10, v6, v112
	;;#ASMEND
	;;#ASMSTART
	v_dot2_f32_f16 v112, v11, v7, v112
	;;#ASMEND
	;;#ASMSTART
	v_dot2_f32_f16 v112, v12, v8, v112
	;;#ASMEND
	ds_read_b128 v[1:4], v88 offset:16
	ds_read_b128 v[5:8], v76 offset:144
	ds_read_b128 v[9:12], v88 offset:4624
	s_waitcnt lgkmcnt(1)
	;;#ASMSTART
	v_dot2_f32_f16 v111, v1, v5, v111
	;;#ASMEND
	;;#ASMSTART
	v_dot2_f32_f16 v111, v2, v6, v111
	;;#ASMEND
	;;#ASMSTART
	v_dot2_f32_f16 v111, v3, v7, v111
	;;#ASMEND
	;;#ASMSTART
	v_dot2_f32_f16 v111, v4, v8, v111
	;;#ASMEND
	s_waitcnt lgkmcnt(0)
	;;#ASMSTART
	v_dot2_f32_f16 v112, v9, v5, v112
	;;#ASMEND
	;;#ASMSTART
	v_dot2_f32_f16 v112, v10, v6, v112
	;;#ASMEND
	;;#ASMSTART
	v_dot2_f32_f16 v112, v11, v7, v112
	;;#ASMEND
	;;#ASMSTART
	v_dot2_f32_f16 v112, v12, v8, v112
	;;#ASMEND
	ds_read_b128 v[1:4], v88 offset:32
	;; [unrolled: 29-line block ×7, first 2 shown]
	ds_read_b128 v[5:8], v76 offset:240
	ds_read_b128 v[9:12], v88 offset:4720
	s_waitcnt lgkmcnt(1)
	;;#ASMSTART
	v_dot2_f32_f16 v111, v1, v5, v111
	;;#ASMEND
	;;#ASMSTART
	v_dot2_f32_f16 v111, v2, v6, v111
	;;#ASMEND
	;;#ASMSTART
	v_dot2_f32_f16 v111, v3, v7, v111
	;;#ASMEND
	;;#ASMSTART
	v_dot2_f32_f16 v111, v4, v8, v111
	;;#ASMEND
	s_waitcnt lgkmcnt(0)
	;;#ASMSTART
	v_dot2_f32_f16 v112, v9, v5, v112
	;;#ASMEND
	;;#ASMSTART
	v_dot2_f32_f16 v112, v10, v6, v112
	;;#ASMEND
	;;#ASMSTART
	v_dot2_f32_f16 v112, v11, v7, v112
	;;#ASMEND
	;;#ASMSTART
	v_dot2_f32_f16 v112, v12, v8, v112
	;;#ASMEND
	s_barrier
	global_load_dwordx4 v[1:4], v[50:51], off offset:256
	global_load_dwordx4 v[5:8], v[32:33], off offset:256
	;; [unrolled: 1-line block ×4, first 2 shown]
	s_waitcnt vmcnt(3)
	ds_write_b128 v84, v[1:4]
	s_waitcnt vmcnt(2)
	ds_write_b128 v85, v[5:8]
	s_waitcnt vmcnt(1)
	ds_write_b128 v86, v[9:12]
	s_waitcnt vmcnt(0)
	ds_write_b128 v87, v[13:16]
	s_waitcnt lgkmcnt(0)
	s_barrier
	ds_read_b128 v[1:4], v88
	ds_read_b128 v[5:8], v76 offset:256
	ds_read_b128 v[9:12], v88 offset:4608
	s_waitcnt lgkmcnt(1)
	;;#ASMSTART
	v_dot2_f32_f16 v111, v1, v5, v111
	;;#ASMEND
	;;#ASMSTART
	v_dot2_f32_f16 v111, v2, v6, v111
	;;#ASMEND
	;;#ASMSTART
	v_dot2_f32_f16 v111, v3, v7, v111
	;;#ASMEND
	;;#ASMSTART
	v_dot2_f32_f16 v111, v4, v8, v111
	;;#ASMEND
	s_waitcnt lgkmcnt(0)
	;;#ASMSTART
	v_dot2_f32_f16 v112, v9, v5, v112
	;;#ASMEND
	;;#ASMSTART
	v_dot2_f32_f16 v112, v10, v6, v112
	;;#ASMEND
	;;#ASMSTART
	v_dot2_f32_f16 v112, v11, v7, v112
	;;#ASMEND
	;;#ASMSTART
	v_dot2_f32_f16 v112, v12, v8, v112
	;;#ASMEND
	ds_read_b128 v[1:4], v88 offset:16
	ds_read_b128 v[5:8], v76 offset:272
	ds_read_b128 v[9:12], v88 offset:4624
	s_waitcnt lgkmcnt(1)
	;;#ASMSTART
	v_dot2_f32_f16 v111, v1, v5, v111
	;;#ASMEND
	;;#ASMSTART
	v_dot2_f32_f16 v111, v2, v6, v111
	;;#ASMEND
	;;#ASMSTART
	v_dot2_f32_f16 v111, v3, v7, v111
	;;#ASMEND
	;;#ASMSTART
	v_dot2_f32_f16 v111, v4, v8, v111
	;;#ASMEND
	s_waitcnt lgkmcnt(0)
	;;#ASMSTART
	v_dot2_f32_f16 v112, v9, v5, v112
	;;#ASMEND
	;;#ASMSTART
	v_dot2_f32_f16 v112, v10, v6, v112
	;;#ASMEND
	;;#ASMSTART
	v_dot2_f32_f16 v112, v11, v7, v112
	;;#ASMEND
	;;#ASMSTART
	v_dot2_f32_f16 v112, v12, v8, v112
	;;#ASMEND
	ds_read_b128 v[1:4], v88 offset:32
	;; [unrolled: 29-line block ×7, first 2 shown]
	ds_read_b128 v[5:8], v76 offset:368
	ds_read_b128 v[9:12], v88 offset:4720
	s_waitcnt lgkmcnt(1)
	;;#ASMSTART
	v_dot2_f32_f16 v111, v1, v5, v111
	;;#ASMEND
	;;#ASMSTART
	v_dot2_f32_f16 v111, v2, v6, v111
	;;#ASMEND
	;; [unrolled: 3-line block ×4, first 2 shown]
	s_waitcnt lgkmcnt(0)
	;;#ASMSTART
	v_dot2_f32_f16 v112, v9, v5, v112
	;;#ASMEND
	;;#ASMSTART
	v_dot2_f32_f16 v112, v10, v6, v112
	;;#ASMEND
	;; [unrolled: 3-line block ×4, first 2 shown]
	s_barrier
	global_load_dwordx4 v[1:4], v[50:51], off offset:384
	global_load_dwordx4 v[5:8], v[32:33], off offset:384
	;; [unrolled: 1-line block ×4, first 2 shown]
	s_waitcnt vmcnt(3)
	ds_write_b128 v84, v[1:4]
	s_waitcnt vmcnt(2)
	ds_write_b128 v85, v[5:8]
	s_waitcnt vmcnt(1)
	ds_write_b128 v86, v[9:12]
	s_waitcnt vmcnt(0)
	ds_write_b128 v87, v[13:16]
	s_waitcnt lgkmcnt(0)
	s_barrier
	ds_read_b128 v[1:4], v88
	ds_read_b128 v[5:8], v76 offset:384
	ds_read_b128 v[9:12], v88 offset:4608
	s_waitcnt lgkmcnt(1)
	;;#ASMSTART
	v_dot2_f32_f16 v111, v1, v5, v111
	;;#ASMEND
	;;#ASMSTART
	v_dot2_f32_f16 v111, v2, v6, v111
	;;#ASMEND
	;;#ASMSTART
	v_dot2_f32_f16 v111, v3, v7, v111
	;;#ASMEND
	;;#ASMSTART
	v_dot2_f32_f16 v111, v4, v8, v111
	;;#ASMEND
	s_waitcnt lgkmcnt(0)
	;;#ASMSTART
	v_dot2_f32_f16 v112, v9, v5, v112
	;;#ASMEND
	;;#ASMSTART
	v_dot2_f32_f16 v112, v10, v6, v112
	;;#ASMEND
	;;#ASMSTART
	v_dot2_f32_f16 v112, v11, v7, v112
	;;#ASMEND
	;;#ASMSTART
	v_dot2_f32_f16 v112, v12, v8, v112
	;;#ASMEND
	ds_read_b128 v[1:4], v88 offset:16
	ds_read_b128 v[5:8], v76 offset:400
	ds_read_b128 v[9:12], v88 offset:4624
	s_waitcnt lgkmcnt(1)
	;;#ASMSTART
	v_dot2_f32_f16 v111, v1, v5, v111
	;;#ASMEND
	;;#ASMSTART
	v_dot2_f32_f16 v111, v2, v6, v111
	;;#ASMEND
	;;#ASMSTART
	v_dot2_f32_f16 v111, v3, v7, v111
	;;#ASMEND
	;;#ASMSTART
	v_dot2_f32_f16 v111, v4, v8, v111
	;;#ASMEND
	s_waitcnt lgkmcnt(0)
	;;#ASMSTART
	v_dot2_f32_f16 v112, v9, v5, v112
	;;#ASMEND
	;;#ASMSTART
	v_dot2_f32_f16 v112, v10, v6, v112
	;;#ASMEND
	;;#ASMSTART
	v_dot2_f32_f16 v112, v11, v7, v112
	;;#ASMEND
	;;#ASMSTART
	v_dot2_f32_f16 v112, v12, v8, v112
	;;#ASMEND
	ds_read_b128 v[1:4], v88 offset:32
	;; [unrolled: 29-line block ×7, first 2 shown]
	ds_read_b128 v[5:8], v76 offset:496
	ds_read_b128 v[9:12], v88 offset:4720
	s_waitcnt lgkmcnt(1)
	;;#ASMSTART
	v_dot2_f32_f16 v111, v1, v5, v111
	;;#ASMEND
	;;#ASMSTART
	v_dot2_f32_f16 v111, v2, v6, v111
	;;#ASMEND
	;; [unrolled: 3-line block ×4, first 2 shown]
	s_waitcnt lgkmcnt(0)
	;;#ASMSTART
	v_dot2_f32_f16 v112, v9, v5, v112
	;;#ASMEND
	;;#ASMSTART
	v_dot2_f32_f16 v112, v10, v6, v112
	;;#ASMEND
	;; [unrolled: 3-line block ×4, first 2 shown]
	s_barrier
	global_load_dwordx4 v[1:4], v[50:51], off offset:512
	global_load_dwordx4 v[5:8], v[32:33], off offset:512
	;; [unrolled: 1-line block ×4, first 2 shown]
	s_waitcnt vmcnt(3)
	ds_write_b128 v84, v[1:4]
	s_waitcnt vmcnt(2)
	ds_write_b128 v85, v[5:8]
	;; [unrolled: 2-line block ×4, first 2 shown]
	s_waitcnt lgkmcnt(0)
	s_barrier
	ds_read_b128 v[1:4], v88
	ds_read_b128 v[5:8], v76 offset:512
	ds_read_b128 v[9:12], v88 offset:4608
	s_waitcnt lgkmcnt(1)
	;;#ASMSTART
	v_dot2_f32_f16 v111, v1, v5, v111
	;;#ASMEND
	;;#ASMSTART
	v_dot2_f32_f16 v111, v2, v6, v111
	;;#ASMEND
	;;#ASMSTART
	v_dot2_f32_f16 v111, v3, v7, v111
	;;#ASMEND
	;;#ASMSTART
	v_dot2_f32_f16 v111, v4, v8, v111
	;;#ASMEND
	s_waitcnt lgkmcnt(0)
	;;#ASMSTART
	v_dot2_f32_f16 v112, v9, v5, v112
	;;#ASMEND
	;;#ASMSTART
	v_dot2_f32_f16 v112, v10, v6, v112
	;;#ASMEND
	;;#ASMSTART
	v_dot2_f32_f16 v112, v11, v7, v112
	;;#ASMEND
	;;#ASMSTART
	v_dot2_f32_f16 v112, v12, v8, v112
	;;#ASMEND
	ds_read_b128 v[1:4], v88 offset:16
	ds_read_b128 v[5:8], v76 offset:528
	ds_read_b128 v[9:12], v88 offset:4624
	s_waitcnt lgkmcnt(1)
	;;#ASMSTART
	v_dot2_f32_f16 v111, v1, v5, v111
	;;#ASMEND
	;;#ASMSTART
	v_dot2_f32_f16 v111, v2, v6, v111
	;;#ASMEND
	;;#ASMSTART
	v_dot2_f32_f16 v111, v3, v7, v111
	;;#ASMEND
	;;#ASMSTART
	v_dot2_f32_f16 v111, v4, v8, v111
	;;#ASMEND
	s_waitcnt lgkmcnt(0)
	;;#ASMSTART
	v_dot2_f32_f16 v112, v9, v5, v112
	;;#ASMEND
	;;#ASMSTART
	v_dot2_f32_f16 v112, v10, v6, v112
	;;#ASMEND
	;;#ASMSTART
	v_dot2_f32_f16 v112, v11, v7, v112
	;;#ASMEND
	;;#ASMSTART
	v_dot2_f32_f16 v112, v12, v8, v112
	;;#ASMEND
	ds_read_b128 v[1:4], v88 offset:32
	;; [unrolled: 29-line block ×7, first 2 shown]
	ds_read_b128 v[5:8], v76 offset:624
	ds_read_b128 v[9:12], v88 offset:4720
	s_waitcnt lgkmcnt(1)
	;;#ASMSTART
	v_dot2_f32_f16 v111, v1, v5, v111
	;;#ASMEND
	;;#ASMSTART
	v_dot2_f32_f16 v111, v2, v6, v111
	;;#ASMEND
	;; [unrolled: 3-line block ×4, first 2 shown]
	s_waitcnt lgkmcnt(0)
	;;#ASMSTART
	v_dot2_f32_f16 v112, v9, v5, v112
	;;#ASMEND
	;;#ASMSTART
	v_dot2_f32_f16 v112, v10, v6, v112
	;;#ASMEND
	;; [unrolled: 3-line block ×4, first 2 shown]
	s_barrier
	global_load_dwordx4 v[1:4], v[50:51], off offset:640
	global_load_dwordx4 v[5:8], v[32:33], off offset:640
	;; [unrolled: 1-line block ×4, first 2 shown]
	s_waitcnt vmcnt(3)
	ds_write_b128 v84, v[1:4]
	s_waitcnt vmcnt(2)
	ds_write_b128 v85, v[5:8]
	;; [unrolled: 2-line block ×4, first 2 shown]
	s_waitcnt lgkmcnt(0)
	s_barrier
	ds_read_b128 v[1:4], v88
	ds_read_b128 v[5:8], v76 offset:640
	ds_read_b128 v[9:12], v88 offset:4608
	s_waitcnt lgkmcnt(1)
	;;#ASMSTART
	v_dot2_f32_f16 v111, v1, v5, v111
	;;#ASMEND
	;;#ASMSTART
	v_dot2_f32_f16 v111, v2, v6, v111
	;;#ASMEND
	;;#ASMSTART
	v_dot2_f32_f16 v111, v3, v7, v111
	;;#ASMEND
	;;#ASMSTART
	v_dot2_f32_f16 v111, v4, v8, v111
	;;#ASMEND
	s_waitcnt lgkmcnt(0)
	;;#ASMSTART
	v_dot2_f32_f16 v112, v9, v5, v112
	;;#ASMEND
	;;#ASMSTART
	v_dot2_f32_f16 v112, v10, v6, v112
	;;#ASMEND
	;;#ASMSTART
	v_dot2_f32_f16 v112, v11, v7, v112
	;;#ASMEND
	;;#ASMSTART
	v_dot2_f32_f16 v112, v12, v8, v112
	;;#ASMEND
	ds_read_b128 v[1:4], v88 offset:16
	ds_read_b128 v[5:8], v76 offset:656
	ds_read_b128 v[9:12], v88 offset:4624
	s_waitcnt lgkmcnt(1)
	;;#ASMSTART
	v_dot2_f32_f16 v111, v1, v5, v111
	;;#ASMEND
	;;#ASMSTART
	v_dot2_f32_f16 v111, v2, v6, v111
	;;#ASMEND
	;;#ASMSTART
	v_dot2_f32_f16 v111, v3, v7, v111
	;;#ASMEND
	;;#ASMSTART
	v_dot2_f32_f16 v111, v4, v8, v111
	;;#ASMEND
	s_waitcnt lgkmcnt(0)
	;;#ASMSTART
	v_dot2_f32_f16 v112, v9, v5, v112
	;;#ASMEND
	;;#ASMSTART
	v_dot2_f32_f16 v112, v10, v6, v112
	;;#ASMEND
	;;#ASMSTART
	v_dot2_f32_f16 v112, v11, v7, v112
	;;#ASMEND
	;;#ASMSTART
	v_dot2_f32_f16 v112, v12, v8, v112
	;;#ASMEND
	ds_read_b128 v[1:4], v88 offset:32
	;; [unrolled: 29-line block ×7, first 2 shown]
	ds_read_b128 v[5:8], v76 offset:752
	ds_read_b128 v[9:12], v88 offset:4720
	s_waitcnt lgkmcnt(1)
	;;#ASMSTART
	v_dot2_f32_f16 v111, v1, v5, v111
	;;#ASMEND
	;;#ASMSTART
	v_dot2_f32_f16 v111, v2, v6, v111
	;;#ASMEND
	;; [unrolled: 3-line block ×4, first 2 shown]
	s_waitcnt lgkmcnt(0)
	;;#ASMSTART
	v_dot2_f32_f16 v112, v9, v5, v112
	;;#ASMEND
	;;#ASMSTART
	v_dot2_f32_f16 v112, v10, v6, v112
	;;#ASMEND
	;; [unrolled: 3-line block ×4, first 2 shown]
	s_barrier
	global_load_dwordx4 v[1:4], v[50:51], off offset:768
	global_load_dwordx4 v[5:8], v[32:33], off offset:768
	;; [unrolled: 1-line block ×4, first 2 shown]
	s_waitcnt vmcnt(3)
	ds_write_b128 v84, v[1:4]
	s_waitcnt vmcnt(2)
	ds_write_b128 v85, v[5:8]
	;; [unrolled: 2-line block ×4, first 2 shown]
	s_waitcnt lgkmcnt(0)
	s_barrier
	ds_read_b128 v[1:4], v88
	ds_read_b128 v[5:8], v76 offset:768
	ds_read_b128 v[9:12], v88 offset:4608
	s_waitcnt lgkmcnt(1)
	;;#ASMSTART
	v_dot2_f32_f16 v111, v1, v5, v111
	;;#ASMEND
	;;#ASMSTART
	v_dot2_f32_f16 v111, v2, v6, v111
	;;#ASMEND
	;;#ASMSTART
	v_dot2_f32_f16 v111, v3, v7, v111
	;;#ASMEND
	;;#ASMSTART
	v_dot2_f32_f16 v111, v4, v8, v111
	;;#ASMEND
	s_waitcnt lgkmcnt(0)
	;;#ASMSTART
	v_dot2_f32_f16 v112, v9, v5, v112
	;;#ASMEND
	;;#ASMSTART
	v_dot2_f32_f16 v112, v10, v6, v112
	;;#ASMEND
	;;#ASMSTART
	v_dot2_f32_f16 v112, v11, v7, v112
	;;#ASMEND
	;;#ASMSTART
	v_dot2_f32_f16 v112, v12, v8, v112
	;;#ASMEND
	ds_read_b128 v[1:4], v88 offset:16
	ds_read_b128 v[5:8], v76 offset:784
	ds_read_b128 v[9:12], v88 offset:4624
	s_waitcnt lgkmcnt(1)
	;;#ASMSTART
	v_dot2_f32_f16 v111, v1, v5, v111
	;;#ASMEND
	;;#ASMSTART
	v_dot2_f32_f16 v111, v2, v6, v111
	;;#ASMEND
	;;#ASMSTART
	v_dot2_f32_f16 v111, v3, v7, v111
	;;#ASMEND
	;;#ASMSTART
	v_dot2_f32_f16 v111, v4, v8, v111
	;;#ASMEND
	s_waitcnt lgkmcnt(0)
	;;#ASMSTART
	v_dot2_f32_f16 v112, v9, v5, v112
	;;#ASMEND
	;;#ASMSTART
	v_dot2_f32_f16 v112, v10, v6, v112
	;;#ASMEND
	;;#ASMSTART
	v_dot2_f32_f16 v112, v11, v7, v112
	;;#ASMEND
	;;#ASMSTART
	v_dot2_f32_f16 v112, v12, v8, v112
	;;#ASMEND
	ds_read_b128 v[1:4], v88 offset:32
	;; [unrolled: 29-line block ×7, first 2 shown]
	ds_read_b128 v[5:8], v76 offset:880
	ds_read_b128 v[9:12], v88 offset:4720
	s_waitcnt lgkmcnt(1)
	;;#ASMSTART
	v_dot2_f32_f16 v111, v1, v5, v111
	;;#ASMEND
	;;#ASMSTART
	v_dot2_f32_f16 v111, v2, v6, v111
	;;#ASMEND
	;; [unrolled: 3-line block ×4, first 2 shown]
	s_waitcnt lgkmcnt(0)
	;;#ASMSTART
	v_dot2_f32_f16 v112, v9, v5, v112
	;;#ASMEND
	;;#ASMSTART
	v_dot2_f32_f16 v112, v10, v6, v112
	;;#ASMEND
	;; [unrolled: 3-line block ×4, first 2 shown]
	s_barrier
	global_load_dwordx4 v[1:4], v[50:51], off offset:896
	global_load_dwordx4 v[5:8], v[32:33], off offset:896
	;; [unrolled: 1-line block ×4, first 2 shown]
	s_waitcnt vmcnt(3)
	ds_write_b128 v84, v[1:4]
	s_waitcnt vmcnt(2)
	ds_write_b128 v85, v[5:8]
	;; [unrolled: 2-line block ×4, first 2 shown]
	s_waitcnt lgkmcnt(0)
	s_barrier
	ds_read_b128 v[1:4], v88
	ds_read_b128 v[5:8], v76 offset:896
	ds_read_b128 v[9:12], v88 offset:4608
	s_waitcnt lgkmcnt(1)
	;;#ASMSTART
	v_dot2_f32_f16 v111, v1, v5, v111
	;;#ASMEND
	;;#ASMSTART
	v_dot2_f32_f16 v111, v2, v6, v111
	;;#ASMEND
	;;#ASMSTART
	v_dot2_f32_f16 v111, v3, v7, v111
	;;#ASMEND
	;;#ASMSTART
	v_dot2_f32_f16 v111, v4, v8, v111
	;;#ASMEND
	s_waitcnt lgkmcnt(0)
	;;#ASMSTART
	v_dot2_f32_f16 v112, v9, v5, v112
	;;#ASMEND
	;;#ASMSTART
	v_dot2_f32_f16 v112, v10, v6, v112
	;;#ASMEND
	;;#ASMSTART
	v_dot2_f32_f16 v112, v11, v7, v112
	;;#ASMEND
	;;#ASMSTART
	v_dot2_f32_f16 v112, v12, v8, v112
	;;#ASMEND
	ds_read_b128 v[1:4], v88 offset:16
	ds_read_b128 v[5:8], v76 offset:912
	ds_read_b128 v[9:12], v88 offset:4624
	s_waitcnt lgkmcnt(1)
	;;#ASMSTART
	v_dot2_f32_f16 v111, v1, v5, v111
	;;#ASMEND
	;;#ASMSTART
	v_dot2_f32_f16 v111, v2, v6, v111
	;;#ASMEND
	;;#ASMSTART
	v_dot2_f32_f16 v111, v3, v7, v111
	;;#ASMEND
	;;#ASMSTART
	v_dot2_f32_f16 v111, v4, v8, v111
	;;#ASMEND
	s_waitcnt lgkmcnt(0)
	;;#ASMSTART
	v_dot2_f32_f16 v112, v9, v5, v112
	;;#ASMEND
	;;#ASMSTART
	v_dot2_f32_f16 v112, v10, v6, v112
	;;#ASMEND
	;;#ASMSTART
	v_dot2_f32_f16 v112, v11, v7, v112
	;;#ASMEND
	;;#ASMSTART
	v_dot2_f32_f16 v112, v12, v8, v112
	;;#ASMEND
	ds_read_b128 v[1:4], v88 offset:32
	;; [unrolled: 29-line block ×7, first 2 shown]
	ds_read_b128 v[5:8], v76 offset:1008
	ds_read_b128 v[9:12], v88 offset:4720
	s_waitcnt lgkmcnt(1)
	;;#ASMSTART
	v_dot2_f32_f16 v111, v1, v5, v111
	;;#ASMEND
	;;#ASMSTART
	v_dot2_f32_f16 v111, v2, v6, v111
	;;#ASMEND
	;; [unrolled: 3-line block ×4, first 2 shown]
	s_waitcnt lgkmcnt(0)
	;;#ASMSTART
	v_dot2_f32_f16 v112, v9, v5, v112
	;;#ASMEND
	;;#ASMSTART
	v_dot2_f32_f16 v112, v10, v6, v112
	;;#ASMEND
	;; [unrolled: 3-line block ×4, first 2 shown]
	s_barrier
	global_load_dwordx4 v[1:4], v[50:51], off offset:1024
	global_load_dwordx4 v[5:8], v[32:33], off offset:1024
	;; [unrolled: 1-line block ×4, first 2 shown]
	s_waitcnt vmcnt(3)
	ds_write_b128 v84, v[1:4]
	s_waitcnt vmcnt(2)
	ds_write_b128 v85, v[5:8]
	;; [unrolled: 2-line block ×4, first 2 shown]
	s_waitcnt lgkmcnt(0)
	s_barrier
	ds_read_b128 v[1:4], v88
	ds_read_b128 v[5:8], v76 offset:1024
	ds_read_b128 v[9:12], v88 offset:4608
	s_waitcnt lgkmcnt(1)
	;;#ASMSTART
	v_dot2_f32_f16 v111, v1, v5, v111
	;;#ASMEND
	;;#ASMSTART
	v_dot2_f32_f16 v111, v2, v6, v111
	;;#ASMEND
	;;#ASMSTART
	v_dot2_f32_f16 v111, v3, v7, v111
	;;#ASMEND
	;;#ASMSTART
	v_dot2_f32_f16 v111, v4, v8, v111
	;;#ASMEND
	s_waitcnt lgkmcnt(0)
	;;#ASMSTART
	v_dot2_f32_f16 v112, v9, v5, v112
	;;#ASMEND
	;;#ASMSTART
	v_dot2_f32_f16 v112, v10, v6, v112
	;;#ASMEND
	;;#ASMSTART
	v_dot2_f32_f16 v112, v11, v7, v112
	;;#ASMEND
	;;#ASMSTART
	v_dot2_f32_f16 v112, v12, v8, v112
	;;#ASMEND
	ds_read_b128 v[1:4], v88 offset:16
	ds_read_b128 v[5:8], v76 offset:1040
	ds_read_b128 v[9:12], v88 offset:4624
	s_waitcnt lgkmcnt(1)
	;;#ASMSTART
	v_dot2_f32_f16 v111, v1, v5, v111
	;;#ASMEND
	;;#ASMSTART
	v_dot2_f32_f16 v111, v2, v6, v111
	;;#ASMEND
	;;#ASMSTART
	v_dot2_f32_f16 v111, v3, v7, v111
	;;#ASMEND
	;;#ASMSTART
	v_dot2_f32_f16 v111, v4, v8, v111
	;;#ASMEND
	s_waitcnt lgkmcnt(0)
	;;#ASMSTART
	v_dot2_f32_f16 v112, v9, v5, v112
	;;#ASMEND
	;;#ASMSTART
	v_dot2_f32_f16 v112, v10, v6, v112
	;;#ASMEND
	;;#ASMSTART
	v_dot2_f32_f16 v112, v11, v7, v112
	;;#ASMEND
	;;#ASMSTART
	v_dot2_f32_f16 v112, v12, v8, v112
	;;#ASMEND
	ds_read_b128 v[1:4], v88 offset:32
	;; [unrolled: 29-line block ×7, first 2 shown]
	ds_read_b128 v[5:8], v76 offset:1136
	ds_read_b128 v[9:12], v88 offset:4720
	s_waitcnt lgkmcnt(1)
	;;#ASMSTART
	v_dot2_f32_f16 v111, v1, v5, v111
	;;#ASMEND
	;;#ASMSTART
	v_dot2_f32_f16 v111, v2, v6, v111
	;;#ASMEND
	;; [unrolled: 3-line block ×4, first 2 shown]
	s_waitcnt lgkmcnt(0)
	;;#ASMSTART
	v_dot2_f32_f16 v112, v9, v5, v112
	;;#ASMEND
	;;#ASMSTART
	v_dot2_f32_f16 v112, v10, v6, v112
	;;#ASMEND
	;; [unrolled: 3-line block ×4, first 2 shown]
	global_load_ushort v1, v[30:31], off
	global_load_ushort v2, v[30:31], off offset:64
	s_waitcnt vmcnt(0)
	s_barrier
	global_load_dwordx4 v[3:6], v[40:41], off
	global_load_dwordx4 v[7:10], v[40:41], off offset:512
	global_load_dwordx4 v[11:14], v[38:39], off
	global_load_dwordx4 v[30:33], v[38:39], off offset:512
	s_or_b32 s37, s6, 8
	s_mul_hi_i32 s3, s37, s14
	s_mul_i32 s2, s37, s14
	s_lshl_b64 s[2:3], s[2:3], 2
	s_add_u32 s0, s12, s2
	s_addc_u32 s1, s13, s3
	v_mov_b32_e32 v42, s1
	v_mov_b32_e32 v43, s1
	v_add_co_u32_e32 v44, vcc, s0, v28
	v_add_co_u32_e64 v45, s[0:1], s0, v26
	s_or_b32 s2, s6, 16
	v_addc_co_u32_e64 v46, s[0:1], v42, v27, s[0:1]
	v_addc_co_u32_e32 v43, vcc, v43, v29, vcc
	s_mul_hi_i32 s3, s2, s14
	s_mul_i32 s2, s2, s14
	v_add_co_u32_e32 v42, vcc, v44, v91
	v_add_co_u32_e64 v44, s[0:1], v45, v91
	s_lshl_b64 s[2:3], s[2:3], 2
	v_addc_co_u32_e64 v45, s[0:1], 0, v46, s[0:1]
	s_add_u32 s0, s12, s2
	v_addc_co_u32_e32 v43, vcc, 0, v43, vcc
	s_addc_u32 s1, s13, s3
	v_mov_b32_e32 v46, s1
	v_mov_b32_e32 v47, s1
	v_add_co_u32_e32 v48, vcc, s0, v28
	v_add_co_u32_e64 v49, s[0:1], s0, v26
	s_or_b32 s2, s6, 24
	v_addc_co_u32_e64 v52, s[0:1], v46, v27, s[0:1]
	v_addc_co_u32_e32 v47, vcc, v47, v29, vcc
	s_mul_hi_i32 s3, s2, s14
	s_mul_i32 s2, s2, s14
	v_add_co_u32_e32 v46, vcc, v48, v91
	v_add_co_u32_e64 v48, s[0:1], v49, v91
	s_lshl_b64 s[2:3], s[2:3], 2
	v_addc_co_u32_e64 v49, s[0:1], 0, v52, s[0:1]
	s_add_u32 s0, s12, s2
	v_addc_co_u32_e32 v47, vcc, 0, v47, vcc
	s_addc_u32 s1, s13, s3
	v_mov_b32_e32 v52, s1
	v_mov_b32_e32 v53, s1
	v_add_co_u32_e32 v54, vcc, s0, v28
	v_add_co_u32_e64 v55, s[0:1], s0, v26
	s_or_b32 s2, s6, 32
	v_addc_co_u32_e64 v56, s[0:1], v52, v27, s[0:1]
	v_addc_co_u32_e32 v53, vcc, v53, v29, vcc
	s_mul_hi_i32 s3, s2, s14
	s_mul_i32 s2, s2, s14
	v_add_co_u32_e32 v52, vcc, v54, v91
	v_add_co_u32_e64 v54, s[0:1], v55, v91
	s_lshl_b64 s[2:3], s[2:3], 2
	v_addc_co_u32_e64 v55, s[0:1], 0, v56, s[0:1]
	v_cvt_f32_f16_e32 v1, v1
	v_cvt_f32_f16_e32 v2, v2
	s_add_u32 s0, s12, s2
	v_addc_co_u32_e32 v53, vcc, 0, v53, vcc
	v_add_f32_e32 v15, v111, v1
	v_add_f32_e32 v2, v112, v2
	;; [unrolled: 1-line block ×4, first 2 shown]
	v_max3_f32 v1, v110, v1, v16
	ds_bpermute_b32 v16, v118, v1
	s_addc_u32 s1, s13, s3
	v_mov_b32_e32 v56, s1
	v_mov_b32_e32 v57, s1
	v_add_co_u32_e32 v58, vcc, s0, v28
	s_waitcnt lgkmcnt(0)
	v_max_f32_e32 v16, v16, v16
	v_max_f32_e32 v1, v1, v16
	ds_bpermute_b32 v16, v117, v1
	v_add_co_u32_e64 v59, s[0:1], s0, v26
	s_or_b32 s2, s6, 40
	v_addc_co_u32_e64 v60, s[0:1], v56, v27, s[0:1]
	s_waitcnt lgkmcnt(0)
	v_max_f32_e32 v16, v16, v16
	v_max_f32_e32 v1, v1, v16
	ds_bpermute_b32 v16, v116, v1
	v_addc_co_u32_e32 v57, vcc, v57, v29, vcc
	s_mul_hi_i32 s3, s2, s14
	s_mul_i32 s2, s2, s14
	s_waitcnt lgkmcnt(0)
	v_max_f32_e32 v16, v16, v16
	v_max_f32_e32 v1, v1, v16
	ds_bpermute_b32 v16, v115, v1
	v_add_co_u32_e32 v56, vcc, v58, v91
	v_add_co_u32_e64 v58, s[0:1], v59, v91
	s_lshl_b64 s[2:3], s[2:3], 2
	v_addc_co_u32_e64 v59, s[0:1], 0, v60, s[0:1]
	s_add_u32 s0, s12, s2
	s_waitcnt lgkmcnt(0)
	v_max_f32_e32 v16, v16, v16
	v_addc_co_u32_e32 v57, vcc, 0, v57, vcc
	s_addc_u32 s1, s13, s3
	v_max_f32_e32 v1, v1, v16
	v_mov_b32_e32 v60, s1
	v_mov_b32_e32 v61, s1
	v_add_co_u32_e32 v62, vcc, s0, v28
	v_add_co_u32_e64 v63, s[0:1], s0, v26
	ds_bpermute_b32 v16, v114, v1
	s_or_b32 s2, s6, 48
	v_addc_co_u32_e64 v60, s[0:1], v60, v27, s[0:1]
	s_mul_hi_i32 s3, s2, s14
	s_mul_i32 s2, s2, s14
	v_add_co_u32_e64 v66, s[0:1], v63, v91
	v_addc_co_u32_e32 v61, vcc, v61, v29, vcc
	s_lshl_b64 s[2:3], s[2:3], 2
	v_addc_co_u32_e64 v67, s[0:1], 0, v60, s[0:1]
	v_add_co_u32_e32 v62, vcc, v62, v91
	s_add_u32 s0, s12, s2
	v_addc_co_u32_e32 v63, vcc, 0, v61, vcc
	s_addc_u32 s1, s13, s3
	s_waitcnt lgkmcnt(0)
	v_max_f32_e32 v16, v16, v16
	v_mov_b32_e32 v60, s1
	v_mov_b32_e32 v61, s1
	v_add_co_u32_e32 v64, vcc, s0, v28
	v_add_co_u32_e64 v65, s[0:1], s0, v26
	v_max_f32_e32 v1, v1, v16
	s_or_b32 s2, s6, 56
	v_addc_co_u32_e64 v60, s[0:1], v60, v27, s[0:1]
	v_sub_f32_e32 v16, v110, v1
	v_sub_f32_e32 v15, v15, v1
	;; [unrolled: 1-line block ×3, first 2 shown]
	s_mul_hi_i32 s3, s2, s14
	s_mul_i32 s2, s2, s14
	v_add_co_u32_e64 v70, s[0:1], v65, v91
	v_mul_f32_e32 v34, 0x3fb8aa3b, v15
	v_mul_f32_e32 v35, 0x3fb8aa3b, v2
	;; [unrolled: 1-line block ×3, first 2 shown]
	v_addc_co_u32_e32 v61, vcc, v61, v29, vcc
	s_lshl_b64 s[2:3], s[2:3], 2
	v_addc_co_u32_e64 v71, s[0:1], 0, v60, s[0:1]
	v_fma_f32 v37, v15, s24, -v34
	v_rndne_f32_e32 v38, v34
	v_fma_f32 v39, v2, s24, -v35
	v_rndne_f32_e32 v40, v35
	v_fma_f32 v41, v16, s24, -v36
	v_rndne_f32_e32 v50, v36
	v_add_co_u32_e32 v68, vcc, v64, v91
	s_add_u32 s0, s12, s2
	v_fmac_f32_e32 v37, 0x32a5705f, v15
	v_sub_f32_e32 v34, v34, v38
	v_fmac_f32_e32 v39, 0x32a5705f, v2
	v_sub_f32_e32 v35, v35, v40
	;; [unrolled: 2-line block ×3, first 2 shown]
	v_addc_co_u32_e32 v69, vcc, 0, v61, vcc
	s_addc_u32 s1, s13, s3
	v_add_f32_e32 v34, v34, v37
	v_add_f32_e32 v35, v35, v39
	;; [unrolled: 1-line block ×3, first 2 shown]
	v_mov_b32_e32 v60, s1
	v_mov_b32_e32 v61, s1
	v_add_co_u32_e32 v64, vcc, s0, v28
	v_add_co_u32_e64 v65, s[0:1], s0, v26
	v_cvt_i32_f32_e32 v38, v38
	v_cvt_i32_f32_e32 v40, v40
	;; [unrolled: 1-line block ×3, first 2 shown]
	v_exp_f32_e32 v34, v34
	v_exp_f32_e32 v35, v35
	;; [unrolled: 1-line block ×3, first 2 shown]
	v_addc_co_u32_e64 v119, s[0:1], v60, v27, s[0:1]
	v_addc_co_u32_e32 v61, vcc, v61, v29, vcc
	v_add_co_u32_e32 v60, vcc, v64, v91
	v_add_co_u32_e64 v64, s[0:1], v65, v91
	v_addc_co_u32_e64 v65, s[0:1], 0, v119, s[0:1]
	v_addc_co_u32_e32 v61, vcc, 0, v61, vcc
	v_ldexp_f32 v34, v34, v38
	v_ldexp_f32 v35, v35, v40
	v_cmp_ngt_f32_e32 vcc, s25, v2
	v_ldexp_f32 v36, v36, v50
	v_cmp_ngt_f32_e64 s[0:1], s25, v16
	v_cmp_ngt_f32_e64 s[2:3], s25, v15
	v_cndmask_b32_e64 v34, 0, v34, s[2:3]
	v_cndmask_b32_e32 v35, 0, v35, vcc
	v_cmp_nlt_f32_e32 vcc, s31, v2
	v_cndmask_b32_e64 v2, 0, v36, s[0:1]
	v_cmp_nlt_f32_e64 s[0:1], s31, v16
	v_cmp_nlt_f32_e64 s[2:3], s31, v15
	v_cndmask_b32_e64 v15, v98, v34, s[2:3]
	v_cndmask_b32_e32 v16, v98, v35, vcc
	v_cndmask_b32_e64 v34, v98, v2, s[0:1]
	v_cvt_f16_f32_e32 v35, v15
	v_add_f32_e32 v2, v15, v16
	v_cvt_f16_f32_e32 v15, v34
	v_cvt_f16_f32_e32 v16, v16
	v_fmac_f32_e32 v2, v113, v34
	ds_write_b16 v90, v35
	ds_write_b16 v90, v16 offset:64
	s_waitcnt vmcnt(3)
	ds_write_b128 v92, v[3:6]
	s_waitcnt vmcnt(2)
	ds_write_b128 v93, v[7:10]
	;; [unrolled: 2-line block ×4, first 2 shown]
	v_mul_u32_u24_e32 v15, 0x10001, v15
	s_waitcnt lgkmcnt(0)
	s_barrier
	ds_read2_b64 v[3:6], v75 offset1:32
	ds_read2_b64 v[7:10], v75 offset0:64 offset1:96
	ds_read_b128 v[11:14], v89
	ds_read2_b64 v[30:33], v75 offset0:128 offset1:160
	ds_read2_b64 v[34:37], v75 offset0:192 offset1:224
	ds_read2_b64 v[38:41], v99 offset1:32
	ds_read2_b64 v[110:113], v99 offset0:64 offset1:96
	ds_read2_b64 v[114:117], v99 offset0:128 offset1:160
	;; [unrolled: 1-line block ×3, first 2 shown]
	ds_read2_b64 v[122:125], v100 offset1:32
	v_pk_mul_f16 v16, v106, v15
	v_pk_mul_f16 v50, v108, v15
	s_waitcnt lgkmcnt(7)
	v_mul_u32_u24_sdwa v51, v11, s34 dst_sel:DWORD dst_unused:UNUSED_PAD src0_sel:WORD_0 src1_sel:DWORD
	v_pk_mul_f16 v104, v104, v15
	v_pk_mul_f16 v105, v105, v15
	;; [unrolled: 1-line block ×4, first 2 shown]
	v_pk_fma_f16 v16, v5, v51, v16
	v_pk_fma_f16 v50, v6, v51, v50
	ds_read2_b64 v[3:6], v100 offset0:64 offset1:96
	v_pk_mul_f16 v103, v103, v15
	v_pk_mul_f16 v102, v102, v15
	v_pk_fma_f16 v104, v7, v51, v104
	v_pk_fma_f16 v105, v8, v51, v105
	v_mul_u32_u24_sdwa v11, v11, s34 dst_sel:DWORD dst_unused:UNUSED_PAD src0_sel:WORD_1 src1_sel:DWORD
	v_pk_fma_f16 v103, v9, v51, v103
	v_pk_fma_f16 v51, v10, v51, v102
	s_waitcnt lgkmcnt(6)
	v_pk_fma_f16 v102, v34, v11, v104
	v_pk_fma_f16 v104, v35, v11, v105
	;; [unrolled: 1-line block ×10, first 2 shown]
	v_mul_u32_u24_sdwa v15, v12, s34 dst_sel:DWORD dst_unused:UNUSED_PAD src0_sel:WORD_0 src1_sel:DWORD
	s_waitcnt lgkmcnt(4)
	v_pk_fma_f16 v107, v110, v15, v102
	v_pk_fma_f16 v108, v111, v15, v104
	;; [unrolled: 1-line block ×5, first 2 shown]
	v_mul_u32_u24_sdwa v12, v12, s34 dst_sel:DWORD dst_unused:UNUSED_PAD src0_sel:WORD_1 src1_sel:DWORD
	v_pk_fma_f16 v50, v41, v15, v50
	v_pk_fma_f16 v110, v38, v15, v106
	;; [unrolled: 1-line block ×3, first 2 shown]
	s_waitcnt lgkmcnt(2)
	v_pk_fma_f16 v15, v118, v12, v107
	v_pk_fma_f16 v118, v119, v12, v108
	;; [unrolled: 1-line block ×5, first 2 shown]
	v_mul_u32_u24_sdwa v116, v13, s34 dst_sel:DWORD dst_unused:UNUSED_PAD src0_sel:WORD_0 src1_sel:DWORD
	ds_read2_b64 v[7:10], v100 offset0:128 offset1:160
	ds_read2_b64 v[34:37], v100 offset0:192 offset1:224
	ds_read2_b64 v[30:33], v101 offset1:32
	ds_read2_b64 v[102:105], v101 offset0:64 offset1:96
	ds_read2_b64 v[38:41], v101 offset0:128 offset1:160
	;; [unrolled: 1-line block ×3, first 2 shown]
	s_waitcnt lgkmcnt(0)
	s_barrier
	v_pk_fma_f16 v50, v117, v12, v50
	v_pk_fma_f16 v114, v114, v12, v110
	;; [unrolled: 1-line block ×3, first 2 shown]
	global_load_dwordx4 v[110:113], v[44:45], off
	v_mul_u32_u24_sdwa v117, v13, s34 dst_sel:DWORD dst_unused:UNUSED_PAD src0_sel:WORD_1 src1_sel:DWORD
	v_mul_u32_u24_sdwa v120, v14, s34 dst_sel:DWORD dst_unused:UNUSED_PAD src0_sel:WORD_0 src1_sel:DWORD
	v_mul_u32_u24_sdwa v121, v14, s34 dst_sel:DWORD dst_unused:UNUSED_PAD src0_sel:WORD_1 src1_sel:DWORD
	global_load_dwordx4 v[11:14], v[44:45], off offset:512
	v_pk_fma_f16 v15, v3, v116, v15
	v_pk_fma_f16 v118, v4, v116, v118
	v_pk_fma_f16 v119, v5, v116, v119
	v_pk_fma_f16 v51, v6, v116, v51
	global_load_dwordx4 v[3:6], v[42:43], off
	s_nop 0
	global_load_dwordx4 v[42:45], v[42:43], off offset:512
	v_pk_fma_f16 v16, v124, v116, v16
	v_pk_fma_f16 v50, v125, v116, v50
	;; [unrolled: 1-line block ×28, first 2 shown]
	s_waitcnt vmcnt(3)
	ds_write_b128 v92, v[110:113]
	s_waitcnt vmcnt(2)
	ds_write_b128 v93, v[11:14]
	;; [unrolled: 2-line block ×4, first 2 shown]
	s_waitcnt lgkmcnt(0)
	s_barrier
	ds_read2_b64 v[3:6], v75 offset1:32
	ds_read2_b64 v[7:10], v75 offset0:64 offset1:96
	ds_read_b128 v[11:14], v89 offset:16
	ds_read2_b64 v[30:33], v75 offset0:128 offset1:160
	ds_read2_b64 v[34:37], v75 offset0:192 offset1:224
	ds_read2_b64 v[38:41], v99 offset1:32
	ds_read2_b64 v[42:45], v99 offset0:64 offset1:96
	ds_read2_b64 v[102:105], v99 offset0:128 offset1:160
	;; [unrolled: 1-line block ×3, first 2 shown]
	ds_read2_b64 v[110:113], v100 offset1:32
	ds_read2_b64 v[114:117], v100 offset0:64 offset1:96
	s_waitcnt lgkmcnt(8)
	v_mul_u32_u24_sdwa v122, v11, s34 dst_sel:DWORD dst_unused:UNUSED_PAD src0_sel:WORD_0 src1_sel:DWORD
	v_pk_fma_f16 v120, v3, v122, v120
	v_pk_fma_f16 v121, v4, v122, v121
	;; [unrolled: 1-line block ×8, first 2 shown]
	v_mul_u32_u24_sdwa v11, v11, s34 dst_sel:DWORD dst_unused:UNUSED_PAD src0_sel:WORD_1 src1_sel:DWORD
	s_waitcnt lgkmcnt(7)
	v_pk_fma_f16 v120, v30, v11, v120
	v_pk_fma_f16 v121, v31, v11, v121
	;; [unrolled: 1-line block ×4, first 2 shown]
	s_waitcnt lgkmcnt(6)
	v_pk_fma_f16 v15, v34, v11, v15
	v_pk_fma_f16 v16, v35, v11, v16
	;; [unrolled: 1-line block ×4, first 2 shown]
	v_mul_u32_u24_sdwa v119, v12, s34 dst_sel:DWORD dst_unused:UNUSED_PAD src0_sel:WORD_0 src1_sel:DWORD
	s_waitcnt lgkmcnt(5)
	v_pk_fma_f16 v120, v38, v119, v120
	v_pk_fma_f16 v121, v39, v119, v121
	;; [unrolled: 1-line block ×4, first 2 shown]
	s_waitcnt lgkmcnt(4)
	v_pk_fma_f16 v15, v42, v119, v15
	v_pk_fma_f16 v16, v43, v119, v16
	;; [unrolled: 1-line block ×4, first 2 shown]
	v_mul_u32_u24_sdwa v122, v12, s34 dst_sel:DWORD dst_unused:UNUSED_PAD src0_sel:WORD_1 src1_sel:DWORD
	ds_read2_b64 v[3:6], v100 offset0:128 offset1:160
	ds_read2_b64 v[7:10], v100 offset0:192 offset1:224
	ds_read2_b64 v[30:33], v101 offset1:32
	ds_read2_b64 v[34:37], v101 offset0:64 offset1:96
	ds_read2_b64 v[38:41], v101 offset0:128 offset1:160
	;; [unrolled: 1-line block ×3, first 2 shown]
	s_waitcnt lgkmcnt(0)
	s_barrier
	v_pk_fma_f16 v120, v102, v122, v120
	v_pk_fma_f16 v121, v103, v122, v121
	;; [unrolled: 1-line block ×4, first 2 shown]
	global_load_dwordx4 v[102:105], v[48:49], off
	v_mul_u32_u24_sdwa v125, v13, s34 dst_sel:DWORD dst_unused:UNUSED_PAD src0_sel:WORD_0 src1_sel:DWORD
	v_mul_u32_u24_sdwa v126, v13, s34 dst_sel:DWORD dst_unused:UNUSED_PAD src0_sel:WORD_1 src1_sel:DWORD
	v_mul_u32_u24_sdwa v127, v14, s34 dst_sel:DWORD dst_unused:UNUSED_PAD src0_sel:WORD_0 src1_sel:DWORD
	v_mul_u32_u24_sdwa v74, v14, s34 dst_sel:DWORD dst_unused:UNUSED_PAD src0_sel:WORD_1 src1_sel:DWORD
	global_load_dwordx4 v[11:14], v[48:49], off offset:512
	v_pk_fma_f16 v15, v106, v122, v15
	v_pk_fma_f16 v16, v107, v122, v16
	;; [unrolled: 1-line block ×4, first 2 shown]
	global_load_dwordx4 v[48:51], v[46:47], off
	global_load_dwordx4 v[106:109], v[46:47], off offset:512
	v_pk_fma_f16 v46, v110, v125, v120
	v_pk_fma_f16 v47, v111, v125, v121
	;; [unrolled: 1-line block ×32, first 2 shown]
	s_waitcnt vmcnt(3)
	ds_write_b128 v92, v[102:105]
	s_waitcnt vmcnt(2)
	ds_write_b128 v93, v[11:14]
	;; [unrolled: 2-line block ×4, first 2 shown]
	s_waitcnt lgkmcnt(0)
	s_barrier
	ds_read2_b64 v[3:6], v75 offset1:32
	ds_read2_b64 v[7:10], v75 offset0:64 offset1:96
	ds_read_b128 v[11:14], v89 offset:32
	ds_read2_b64 v[30:33], v75 offset0:128 offset1:160
	ds_read2_b64 v[34:37], v75 offset0:192 offset1:224
	ds_read2_b64 v[38:41], v99 offset1:32
	ds_read2_b64 v[42:45], v99 offset0:64 offset1:96
	ds_read2_b64 v[46:49], v99 offset0:128 offset1:160
	;; [unrolled: 1-line block ×3, first 2 shown]
	ds_read2_b64 v[106:109], v100 offset1:32
	ds_read2_b64 v[110:113], v100 offset0:64 offset1:96
	ds_read2_b64 v[114:117], v100 offset0:128 offset1:160
	s_waitcnt lgkmcnt(9)
	v_mul_u32_u24_sdwa v50, v11, s34 dst_sel:DWORD dst_unused:UNUSED_PAD src0_sel:WORD_0 src1_sel:DWORD
	v_pk_fma_f16 v15, v3, v50, v15
	v_pk_fma_f16 v16, v4, v50, v16
	;; [unrolled: 1-line block ×8, first 2 shown]
	v_mul_u32_u24_sdwa v11, v11, s34 dst_sel:DWORD dst_unused:UNUSED_PAD src0_sel:WORD_1 src1_sel:DWORD
	s_waitcnt lgkmcnt(8)
	v_pk_fma_f16 v15, v30, v11, v15
	v_pk_fma_f16 v16, v31, v11, v16
	;; [unrolled: 1-line block ×4, first 2 shown]
	s_waitcnt lgkmcnt(7)
	v_pk_fma_f16 v118, v34, v11, v119
	v_pk_fma_f16 v119, v35, v11, v120
	;; [unrolled: 1-line block ×4, first 2 shown]
	v_mul_u32_u24_sdwa v50, v12, s34 dst_sel:DWORD dst_unused:UNUSED_PAD src0_sel:WORD_0 src1_sel:DWORD
	ds_read2_b64 v[3:6], v100 offset0:192 offset1:224
	ds_read2_b64 v[7:10], v101 offset1:32
	ds_read2_b64 v[30:33], v101 offset0:64 offset1:96
	ds_read2_b64 v[34:37], v101 offset0:128 offset1:160
	s_waitcnt lgkmcnt(10)
	v_pk_fma_f16 v15, v38, v50, v15
	v_pk_fma_f16 v16, v39, v50, v16
	;; [unrolled: 1-line block ×4, first 2 shown]
	ds_read2_b64 v[38:41], v101 offset0:192 offset1:224
	s_waitcnt lgkmcnt(0)
	s_barrier
	v_pk_fma_f16 v122, v42, v50, v118
	v_pk_fma_f16 v123, v43, v50, v119
	;; [unrolled: 1-line block ×4, first 2 shown]
	global_load_dwordx4 v[42:45], v[54:55], off
	global_load_dwordx4 v[118:121], v[54:55], off offset:512
	v_mul_u32_u24_sdwa v12, v12, s34 dst_sel:DWORD dst_unused:UNUSED_PAD src0_sel:WORD_1 src1_sel:DWORD
	v_pk_fma_f16 v15, v46, v12, v15
	v_pk_fma_f16 v16, v47, v12, v16
	;; [unrolled: 1-line block ×4, first 2 shown]
	global_load_dwordx4 v[46:49], v[52:53], off
	v_pk_fma_f16 v74, v102, v12, v122
	global_load_dwordx4 v[50:53], v[52:53], off offset:512
	v_pk_fma_f16 v102, v103, v12, v123
	v_pk_fma_f16 v103, v104, v12, v124
	;; [unrolled: 1-line block ×3, first 2 shown]
	v_mul_u32_u24_sdwa v12, v13, s34 dst_sel:DWORD dst_unused:UNUSED_PAD src0_sel:WORD_0 src1_sel:DWORD
	v_mul_u32_u24_sdwa v13, v13, s34 dst_sel:DWORD dst_unused:UNUSED_PAD src0_sel:WORD_1 src1_sel:DWORD
	v_pk_fma_f16 v15, v106, v12, v15
	v_pk_fma_f16 v16, v107, v12, v16
	;; [unrolled: 1-line block ×8, first 2 shown]
	v_mul_u32_u24_sdwa v104, v14, s34 dst_sel:DWORD dst_unused:UNUSED_PAD src0_sel:WORD_0 src1_sel:DWORD
	v_pk_fma_f16 v12, v114, v13, v15
	v_pk_fma_f16 v15, v115, v13, v16
	v_pk_fma_f16 v16, v116, v13, v54
	v_pk_fma_f16 v54, v117, v13, v55
	v_pk_fma_f16 v3, v3, v13, v74
	v_pk_fma_f16 v4, v4, v13, v102
	v_pk_fma_f16 v5, v5, v13, v103
	v_pk_fma_f16 v6, v6, v13, v11
	v_mul_u32_u24_sdwa v14, v14, s34 dst_sel:DWORD dst_unused:UNUSED_PAD src0_sel:WORD_1 src1_sel:DWORD
	v_pk_fma_f16 v7, v7, v104, v12
	v_pk_fma_f16 v8, v8, v104, v15
	;; [unrolled: 1-line block ×16, first 2 shown]
	s_waitcnt vmcnt(3)
	ds_write_b128 v92, v[42:45]
	s_waitcnt vmcnt(2)
	ds_write_b128 v93, v[118:121]
	;; [unrolled: 2-line block ×4, first 2 shown]
	s_waitcnt lgkmcnt(0)
	s_barrier
	ds_read2_b64 v[3:6], v75 offset1:32
	ds_read2_b64 v[7:10], v75 offset0:64 offset1:96
	ds_read_b128 v[11:14], v89 offset:48
	ds_read2_b64 v[30:33], v75 offset0:128 offset1:160
	ds_read2_b64 v[34:37], v75 offset0:192 offset1:224
	ds_read2_b64 v[38:41], v99 offset1:32
	ds_read2_b64 v[42:45], v99 offset0:64 offset1:96
	ds_read2_b64 v[46:49], v99 offset0:128 offset1:160
	;; [unrolled: 1-line block ×3, first 2 shown]
	ds_read2_b64 v[102:105], v100 offset1:32
	ds_read2_b64 v[106:109], v100 offset0:64 offset1:96
	ds_read2_b64 v[110:113], v100 offset0:128 offset1:160
	;; [unrolled: 1-line block ×3, first 2 shown]
	s_waitcnt lgkmcnt(10)
	v_mul_u32_u24_sdwa v118, v11, s34 dst_sel:DWORD dst_unused:UNUSED_PAD src0_sel:WORD_0 src1_sel:DWORD
	v_pk_fma_f16 v15, v3, v118, v15
	v_pk_fma_f16 v16, v4, v118, v16
	;; [unrolled: 1-line block ×4, first 2 shown]
	v_mul_u32_u24_sdwa v11, v11, s34 dst_sel:DWORD dst_unused:UNUSED_PAD src0_sel:WORD_1 src1_sel:DWORD
	v_pk_fma_f16 v74, v7, v118, v74
	v_pk_fma_f16 v119, v8, v118, v122
	;; [unrolled: 1-line block ×4, first 2 shown]
	s_waitcnt lgkmcnt(9)
	v_pk_fma_f16 v15, v30, v11, v15
	v_pk_fma_f16 v16, v31, v11, v16
	;; [unrolled: 1-line block ×4, first 2 shown]
	v_mul_u32_u24_sdwa v124, v12, s34 dst_sel:DWORD dst_unused:UNUSED_PAD src0_sel:WORD_0 src1_sel:DWORD
	ds_read2_b64 v[3:6], v101 offset1:32
	ds_read2_b64 v[7:10], v101 offset0:64 offset1:96
	ds_read2_b64 v[30:33], v101 offset0:128 offset1:160
	s_waitcnt lgkmcnt(11)
	v_pk_fma_f16 v74, v34, v11, v74
	v_pk_fma_f16 v122, v35, v11, v119
	;; [unrolled: 1-line block ×4, first 2 shown]
	ds_read2_b64 v[34:37], v101 offset0:192 offset1:224
	s_waitcnt lgkmcnt(0)
	s_barrier
	v_pk_fma_f16 v15, v38, v124, v15
	v_pk_fma_f16 v16, v39, v124, v16
	;; [unrolled: 1-line block ×4, first 2 shown]
	global_load_dwordx4 v[38:41], v[58:59], off
	global_load_dwordx4 v[118:121], v[58:59], off offset:512
	v_pk_fma_f16 v58, v42, v124, v74
	v_pk_fma_f16 v59, v43, v124, v122
	;; [unrolled: 1-line block ×4, first 2 shown]
	global_load_dwordx4 v[42:45], v[56:57], off
	v_mul_u32_u24_sdwa v12, v12, s34 dst_sel:DWORD dst_unused:UNUSED_PAD src0_sel:WORD_1 src1_sel:DWORD
	v_pk_fma_f16 v15, v46, v12, v15
	v_pk_fma_f16 v16, v47, v12, v16
	;; [unrolled: 1-line block ×4, first 2 shown]
	global_load_dwordx4 v[46:49], v[56:57], off offset:512
	v_mul_u32_u24_sdwa v56, v13, s34 dst_sel:DWORD dst_unused:UNUSED_PAD src0_sel:WORD_0 src1_sel:DWORD
	v_pk_fma_f16 v50, v50, v12, v58
	v_pk_fma_f16 v51, v51, v12, v59
	;; [unrolled: 1-line block ×4, first 2 shown]
	v_mul_u32_u24_sdwa v13, v13, s34 dst_sel:DWORD dst_unused:UNUSED_PAD src0_sel:WORD_1 src1_sel:DWORD
	v_pk_fma_f16 v12, v102, v56, v15
	v_pk_fma_f16 v15, v103, v56, v16
	;; [unrolled: 1-line block ×8, first 2 shown]
	v_mul_u32_u24_sdwa v57, v14, s34 dst_sel:DWORD dst_unused:UNUSED_PAD src0_sel:WORD_0 src1_sel:DWORD
	v_pk_fma_f16 v12, v110, v13, v12
	v_pk_fma_f16 v15, v111, v13, v15
	;; [unrolled: 1-line block ×8, first 2 shown]
	v_mul_u32_u24_sdwa v14, v14, s34 dst_sel:DWORD dst_unused:UNUSED_PAD src0_sel:WORD_1 src1_sel:DWORD
	v_pk_fma_f16 v3, v3, v57, v12
	v_pk_fma_f16 v4, v4, v57, v15
	v_pk_fma_f16 v5, v5, v57, v16
	v_pk_fma_f16 v6, v6, v57, v53
	v_pk_fma_f16 v7, v7, v57, v50
	v_pk_fma_f16 v8, v8, v57, v51
	v_pk_fma_f16 v9, v9, v57, v52
	v_pk_fma_f16 v10, v10, v57, v11
	v_pk_fma_f16 v15, v30, v14, v3
	v_pk_fma_f16 v16, v31, v14, v4
	v_pk_fma_f16 v58, v32, v14, v5
	v_pk_fma_f16 v59, v33, v14, v6
	v_pk_fma_f16 v74, v34, v14, v7
	v_pk_fma_f16 v122, v35, v14, v8
	v_pk_fma_f16 v123, v36, v14, v9
	v_pk_fma_f16 v124, v37, v14, v10
	s_waitcnt vmcnt(3)
	ds_write_b128 v92, v[38:41]
	s_waitcnt vmcnt(2)
	ds_write_b128 v93, v[118:121]
	s_waitcnt vmcnt(1)
	ds_write_b128 v94, v[42:45]
	s_waitcnt vmcnt(0)
	ds_write_b128 v95, v[46:49]
	s_waitcnt lgkmcnt(0)
	s_barrier
	ds_read2_b64 v[3:6], v75 offset1:32
	ds_read2_b64 v[7:10], v75 offset0:64 offset1:96
	ds_read_b128 v[11:14], v89 offset:64
	ds_read2_b64 v[30:33], v75 offset0:128 offset1:160
	ds_read2_b64 v[34:37], v75 offset0:192 offset1:224
	ds_read2_b64 v[38:41], v99 offset1:32
	ds_read2_b64 v[42:45], v99 offset0:64 offset1:96
	ds_read2_b64 v[46:49], v99 offset0:128 offset1:160
	;; [unrolled: 1-line block ×3, first 2 shown]
	ds_read2_b64 v[54:57], v100 offset1:32
	ds_read2_b64 v[102:105], v100 offset0:64 offset1:96
	ds_read2_b64 v[106:109], v100 offset0:128 offset1:160
	;; [unrolled: 1-line block ×3, first 2 shown]
	ds_read2_b64 v[114:117], v101 offset1:32
	s_waitcnt lgkmcnt(11)
	v_mul_u32_u24_sdwa v118, v11, s34 dst_sel:DWORD dst_unused:UNUSED_PAD src0_sel:WORD_0 src1_sel:DWORD
	v_pk_fma_f16 v15, v3, v118, v15
	v_pk_fma_f16 v16, v4, v118, v16
	;; [unrolled: 1-line block ×8, first 2 shown]
	v_mul_u32_u24_sdwa v11, v11, s34 dst_sel:DWORD dst_unused:UNUSED_PAD src0_sel:WORD_1 src1_sel:DWORD
	ds_read2_b64 v[3:6], v101 offset0:64 offset1:96
	ds_read2_b64 v[7:10], v101 offset0:128 offset1:160
	s_waitcnt lgkmcnt(12)
	v_pk_fma_f16 v15, v30, v11, v15
	v_pk_fma_f16 v16, v31, v11, v16
	;; [unrolled: 1-line block ×4, first 2 shown]
	ds_read2_b64 v[30:33], v101 offset0:192 offset1:224
	s_waitcnt lgkmcnt(0)
	s_barrier
	v_pk_fma_f16 v74, v34, v11, v74
	v_pk_fma_f16 v122, v35, v11, v119
	;; [unrolled: 1-line block ×4, first 2 shown]
	global_load_dwordx4 v[34:37], v[66:67], off
	global_load_dwordx4 v[118:121], v[66:67], off offset:512
	v_mul_u32_u24_sdwa v66, v12, s34 dst_sel:DWORD dst_unused:UNUSED_PAD src0_sel:WORD_0 src1_sel:DWORD
	v_pk_fma_f16 v15, v38, v66, v15
	v_pk_fma_f16 v16, v39, v66, v16
	;; [unrolled: 1-line block ×4, first 2 shown]
	global_load_dwordx4 v[38:41], v[62:63], off
	v_pk_fma_f16 v67, v42, v66, v74
	v_pk_fma_f16 v74, v43, v66, v122
	;; [unrolled: 1-line block ×4, first 2 shown]
	global_load_dwordx4 v[42:45], v[62:63], off offset:512
	v_mul_u32_u24_sdwa v12, v12, s34 dst_sel:DWORD dst_unused:UNUSED_PAD src0_sel:WORD_1 src1_sel:DWORD
	v_mul_u32_u24_sdwa v62, v13, s34 dst_sel:DWORD dst_unused:UNUSED_PAD src0_sel:WORD_0 src1_sel:DWORD
	v_pk_fma_f16 v15, v46, v12, v15
	v_pk_fma_f16 v16, v47, v12, v16
	;; [unrolled: 1-line block ×8, first 2 shown]
	v_mul_u32_u24_sdwa v13, v13, s34 dst_sel:DWORD dst_unused:UNUSED_PAD src0_sel:WORD_1 src1_sel:DWORD
	v_pk_fma_f16 v12, v54, v62, v15
	v_pk_fma_f16 v15, v55, v62, v16
	;; [unrolled: 1-line block ×8, first 2 shown]
	v_mul_u32_u24_sdwa v63, v14, s34 dst_sel:DWORD dst_unused:UNUSED_PAD src0_sel:WORD_0 src1_sel:DWORD
	v_pk_fma_f16 v12, v106, v13, v12
	v_pk_fma_f16 v15, v107, v13, v15
	;; [unrolled: 1-line block ×8, first 2 shown]
	v_mul_u32_u24_sdwa v14, v14, s34 dst_sel:DWORD dst_unused:UNUSED_PAD src0_sel:WORD_1 src1_sel:DWORD
	v_pk_fma_f16 v12, v114, v63, v12
	v_pk_fma_f16 v13, v115, v63, v15
	;; [unrolled: 1-line block ×16, first 2 shown]
	s_waitcnt vmcnt(3)
	ds_write_b128 v92, v[34:37]
	s_waitcnt vmcnt(2)
	ds_write_b128 v93, v[118:121]
	;; [unrolled: 2-line block ×4, first 2 shown]
	s_waitcnt lgkmcnt(0)
	s_barrier
	ds_read2_b64 v[3:6], v75 offset1:32
	ds_read2_b64 v[7:10], v75 offset0:64 offset1:96
	ds_read_b128 v[11:14], v89 offset:80
	ds_read2_b64 v[30:33], v75 offset0:128 offset1:160
	ds_read2_b64 v[34:37], v75 offset0:192 offset1:224
	ds_read2_b64 v[38:41], v99 offset1:32
	ds_read2_b64 v[42:45], v99 offset0:64 offset1:96
	ds_read2_b64 v[46:49], v99 offset0:128 offset1:160
	ds_read2_b64 v[50:53], v99 offset0:192 offset1:224
	ds_read2_b64 v[54:57], v100 offset1:32
	ds_read2_b64 v[102:105], v100 offset0:64 offset1:96
	;; [unrolled: 4-line block ×3, first 2 shown]
	s_waitcnt lgkmcnt(12)
	v_mul_u32_u24_sdwa v74, v11, s34 dst_sel:DWORD dst_unused:UNUSED_PAD src0_sel:WORD_0 src1_sel:DWORD
	v_pk_fma_f16 v58, v3, v74, v58
	v_pk_fma_f16 v59, v4, v74, v59
	;; [unrolled: 1-line block ×4, first 2 shown]
	v_mul_u32_u24_sdwa v11, v11, s34 dst_sel:DWORD dst_unused:UNUSED_PAD src0_sel:WORD_1 src1_sel:DWORD
	ds_read2_b64 v[3:6], v101 offset0:128 offset1:160
	v_pk_fma_f16 v62, v7, v74, v62
	v_pk_fma_f16 v63, v8, v74, v63
	;; [unrolled: 1-line block ×4, first 2 shown]
	ds_read2_b64 v[7:10], v101 offset0:192 offset1:224
	s_waitcnt lgkmcnt(0)
	s_barrier
	v_pk_fma_f16 v58, v30, v11, v58
	v_pk_fma_f16 v59, v31, v11, v59
	;; [unrolled: 1-line block ×4, first 2 shown]
	global_load_dwordx4 v[30:33], v[70:71], off
	global_load_dwordx4 v[122:125], v[70:71], off offset:512
	v_mul_u32_u24_sdwa v70, v12, s34 dst_sel:DWORD dst_unused:UNUSED_PAD src0_sel:WORD_0 src1_sel:DWORD
	v_pk_fma_f16 v62, v34, v11, v62
	v_pk_fma_f16 v63, v35, v11, v63
	v_pk_fma_f16 v66, v36, v11, v66
	v_pk_fma_f16 v67, v37, v11, v67
	v_mul_u32_u24_sdwa v71, v12, s34 dst_sel:DWORD dst_unused:UNUSED_PAD src0_sel:WORD_1 src1_sel:DWORD
	v_mul_u32_u24_sdwa v74, v13, s34 dst_sel:DWORD dst_unused:UNUSED_PAD src0_sel:WORD_0 src1_sel:DWORD
	v_mul_u32_u24_sdwa v126, v13, s34 dst_sel:DWORD dst_unused:UNUSED_PAD src0_sel:WORD_1 src1_sel:DWORD
	v_mul_u32_u24_sdwa v127, v14, s34 dst_sel:DWORD dst_unused:UNUSED_PAD src0_sel:WORD_0 src1_sel:DWORD
	v_mul_u32_u24_sdwa v73, v14, s34 dst_sel:DWORD dst_unused:UNUSED_PAD src0_sel:WORD_1 src1_sel:DWORD
	global_load_dwordx4 v[11:14], v[68:69], off
	global_load_dwordx4 v[34:37], v[68:69], off offset:512
	v_pk_fma_f16 v38, v38, v70, v58
	v_pk_fma_f16 v39, v39, v70, v59
	;; [unrolled: 1-line block ×48, first 2 shown]
	s_waitcnt vmcnt(3)
	ds_write_b128 v92, v[30:33]
	s_waitcnt vmcnt(2)
	ds_write_b128 v93, v[122:125]
	;; [unrolled: 2-line block ×4, first 2 shown]
	s_waitcnt lgkmcnt(0)
	s_barrier
	ds_read2_b64 v[3:6], v75 offset1:32
	ds_read2_b64 v[7:10], v75 offset0:64 offset1:96
	ds_read_b128 v[11:14], v89 offset:96
	ds_read2_b64 v[30:33], v75 offset0:128 offset1:160
	ds_read2_b64 v[34:37], v75 offset0:192 offset1:224
	ds_read2_b64 v[38:41], v99 offset1:32
	ds_read2_b64 v[42:45], v99 offset0:64 offset1:96
	ds_read2_b64 v[46:49], v99 offset0:128 offset1:160
	ds_read2_b64 v[50:53], v99 offset0:192 offset1:224
	ds_read2_b64 v[54:57], v100 offset1:32
	ds_read2_b64 v[66:69], v100 offset0:64 offset1:96
	;; [unrolled: 4-line block ×3, first 2 shown]
	ds_read2_b64 v[118:121], v101 offset0:128 offset1:160
	s_waitcnt lgkmcnt(13)
	v_mul_u32_u24_sdwa v73, v11, s34 dst_sel:DWORD dst_unused:UNUSED_PAD src0_sel:WORD_0 src1_sel:DWORD
	v_pk_fma_f16 v58, v3, v73, v58
	v_pk_fma_f16 v59, v4, v73, v59
	;; [unrolled: 1-line block ×4, first 2 shown]
	ds_read2_b64 v[3:6], v101 offset0:192 offset1:224
	s_waitcnt lgkmcnt(0)
	s_barrier
	v_pk_fma_f16 v74, v7, v73, v62
	v_pk_fma_f16 v122, v8, v73, v63
	;; [unrolled: 1-line block ×4, first 2 shown]
	global_load_dwordx4 v[7:10], v[64:65], off
	s_nop 0
	global_load_dwordx4 v[62:65], v[64:65], off offset:512
	v_mul_u32_u24_sdwa v11, v11, s34 dst_sel:DWORD dst_unused:UNUSED_PAD src0_sel:WORD_1 src1_sel:DWORD
	v_pk_fma_f16 v58, v30, v11, v58
	v_pk_fma_f16 v59, v31, v11, v59
	;; [unrolled: 1-line block ×4, first 2 shown]
	global_load_dwordx4 v[30:33], v[60:61], off
	v_mul_u32_u24_sdwa v73, v12, s34 dst_sel:DWORD dst_unused:UNUSED_PAD src0_sel:WORD_0 src1_sel:DWORD
	v_pk_fma_f16 v34, v34, v11, v74
	v_pk_fma_f16 v35, v35, v11, v122
	;; [unrolled: 1-line block ×4, first 2 shown]
	v_mul_u32_u24_sdwa v70, v12, s34 dst_sel:DWORD dst_unused:UNUSED_PAD src0_sel:WORD_1 src1_sel:DWORD
	v_mul_u32_u24_sdwa v71, v13, s34 dst_sel:DWORD dst_unused:UNUSED_PAD src0_sel:WORD_0 src1_sel:DWORD
	v_mul_u32_u24_sdwa v74, v13, s34 dst_sel:DWORD dst_unused:UNUSED_PAD src0_sel:WORD_1 src1_sel:DWORD
	v_mul_u32_u24_sdwa v122, v14, s34 dst_sel:DWORD dst_unused:UNUSED_PAD src0_sel:WORD_0 src1_sel:DWORD
	v_mul_u32_u24_sdwa v123, v14, s34 dst_sel:DWORD dst_unused:UNUSED_PAD src0_sel:WORD_1 src1_sel:DWORD
	global_load_dwordx4 v[11:14], v[60:61], off offset:512
	v_pk_fma_f16 v38, v38, v73, v58
	v_pk_fma_f16 v39, v39, v73, v59
	;; [unrolled: 1-line block ×48, first 2 shown]
	s_waitcnt vmcnt(3)
	ds_write_b128 v92, v[7:10]
	s_waitcnt vmcnt(2)
	ds_write_b128 v93, v[62:65]
	;; [unrolled: 2-line block ×4, first 2 shown]
	s_waitcnt lgkmcnt(0)
	s_barrier
	ds_read2_b64 v[3:6], v75 offset1:32
	ds_read2_b64 v[7:10], v75 offset0:64 offset1:96
	ds_read_b128 v[11:14], v89 offset:112
	ds_read2_b64 v[30:33], v75 offset0:128 offset1:160
	ds_read2_b64 v[34:37], v75 offset0:192 offset1:224
	ds_read2_b64 v[38:41], v99 offset1:32
	ds_read2_b64 v[42:45], v99 offset0:64 offset1:96
	ds_read2_b64 v[46:49], v99 offset0:128 offset1:160
	ds_read2_b64 v[50:53], v99 offset0:192 offset1:224
	ds_read2_b64 v[54:57], v100 offset1:32
	ds_read2_b64 v[58:61], v100 offset0:64 offset1:96
	;; [unrolled: 4-line block ×3, first 2 shown]
	ds_read2_b64 v[110:113], v101 offset0:128 offset1:160
	s_waitcnt lgkmcnt(13)
	v_mul_u32_u24_sdwa v116, v11, s34 dst_sel:DWORD dst_unused:UNUSED_PAD src0_sel:WORD_0 src1_sel:DWORD
	v_mul_u32_u24_sdwa v117, v11, s34 dst_sel:DWORD dst_unused:UNUSED_PAD src0_sel:WORD_1 src1_sel:DWORD
	v_mul_u32_u24_sdwa v118, v12, s34 dst_sel:DWORD dst_unused:UNUSED_PAD src0_sel:WORD_0 src1_sel:DWORD
	v_mul_u32_u24_sdwa v119, v12, s34 dst_sel:DWORD dst_unused:UNUSED_PAD src0_sel:WORD_1 src1_sel:DWORD
	;; [unrolled: 2-line block ×4, first 2 shown]
	ds_read2_b64 v[11:14], v101 offset0:192 offset1:224
	s_waitcnt lgkmcnt(0)
	s_barrier
	s_load_dword s0, s[10:11], 0x4
	v_pk_fma_f16 v3, v3, v116, v70
	v_pk_fma_f16 v4, v4, v116, v71
	;; [unrolled: 1-line block ×40, first 2 shown]
	s_waitcnt lgkmcnt(0)
	s_lshl_b32 s0, s0, 6
	v_pk_fma_f16 v3, v62, v121, v3
	v_pk_fma_f16 v4, v63, v121, v4
	;; [unrolled: 1-line block ×8, first 2 shown]
	s_add_i32 s6, s0, s6
	v_pk_fma_f16 v3, v102, v122, v3
	v_pk_fma_f16 v4, v103, v122, v4
	;; [unrolled: 1-line block ×8, first 2 shown]
	s_cmp_ge_i32 s6, s28
	v_pk_fma_f16 v107, v110, v123, v3
	v_pk_fma_f16 v109, v111, v123, v4
	;; [unrolled: 1-line block ×8, first 2 shown]
	s_cbranch_scc0 .LBB20_11
; %bb.12:
	buffer_load_dword v22, off, s[40:43], 0 ; 4-byte Folded Reload
	v_lshlrev_b32_e32 v19, 2, v0
.LBB20_13:
	v_cmp_lt_i32_e32 vcc, v83, v78
	v_cndmask_b32_e32 v3, v77, v83, vcc
	v_lshlrev_b32_e32 v3, 2, v3
	ds_bpermute_b32 v3, v3, v2
	v_cmp_lt_i32_e32 vcc, v82, v78
	v_cndmask_b32_e32 v4, v77, v82, vcc
	v_lshlrev_b32_e32 v4, 2, v4
	v_cmp_lt_i32_e32 vcc, v81, v78
	s_waitcnt lgkmcnt(0)
	v_add_f32_e32 v2, v2, v3
	ds_bpermute_b32 v3, v4, v2
	v_cndmask_b32_e32 v4, v77, v81, vcc
	v_lshlrev_b32_e32 v4, 2, v4
	v_cmp_lt_i32_e32 vcc, v79, v78
	s_cmp_lg_u64 s[16:17], 0
	s_waitcnt lgkmcnt(0)
	v_add_f32_e32 v2, v2, v3
	ds_bpermute_b32 v3, v4, v2
	v_cndmask_b32_e32 v4, v77, v79, vcc
	v_lshlrev_b32_e32 v4, 2, v4
	v_cmp_lt_i32_e32 vcc, v80, v78
	v_cndmask_b32_e32 v5, v77, v80, vcc
	s_waitcnt lgkmcnt(0)
	v_add_f32_e32 v2, v2, v3
	ds_bpermute_b32 v4, v4, v2
	v_lshlrev_b32_e32 v5, 2, v5
	s_cselect_b64 s[0:1], -1, 0
	s_cmp_eq_u32 s7, 0
	s_cselect_b64 s[2:3], -1, 0
	s_waitcnt lgkmcnt(0)
	v_add_f32_e32 v2, v2, v4
	ds_bpermute_b32 v4, v5, v2
	s_and_b64 s[0:1], s[2:3], s[0:1]
	s_waitcnt vmcnt(0)
	v_add_u32_e32 v3, s29, v22
	s_and_b64 vcc, exec, s[0:1]
	s_waitcnt lgkmcnt(0)
	v_add_f32_e32 v2, v2, v4
	s_cbranch_vccz .LBB20_15
; %bb.14:
	v_ashrrev_i32_e32 v4, 31, v3
	v_lshlrev_b64 v[4:5], 2, v[3:4]
	v_mov_b32_e32 v6, s17
	v_add_co_u32_e32 v4, vcc, s16, v4
	v_addc_co_u32_e32 v5, vcc, v6, v5, vcc
	global_load_dword v4, v[4:5], off
	v_max_f32_e32 v5, v1, v1
	s_mov_b32 s0, 0x3fb8aa3b
	s_mov_b32 s1, 0xc2ce8ed0
	s_waitcnt vmcnt(0)
	v_max_f32_e32 v6, v4, v4
	v_max_f32_e32 v5, v5, v6
	v_sub_f32_e32 v1, v1, v5
	v_sub_f32_e32 v4, v4, v5
	v_mul_f32_e32 v6, 0x3fb8aa3b, v1
	v_mul_f32_e32 v7, 0x3fb8aa3b, v4
	v_fma_f32 v8, v1, s0, -v6
	v_rndne_f32_e32 v9, v6
	v_fma_f32 v10, v4, s0, -v7
	v_rndne_f32_e32 v11, v7
	v_fmac_f32_e32 v8, 0x32a5705f, v1
	v_sub_f32_e32 v6, v6, v9
	v_fmac_f32_e32 v10, 0x32a5705f, v4
	v_sub_f32_e32 v7, v7, v11
	v_add_f32_e32 v6, v6, v8
	v_cvt_i32_f32_e32 v9, v9
	v_add_f32_e32 v7, v7, v10
	v_exp_f32_e32 v6, v6
	v_cvt_i32_f32_e32 v11, v11
	v_exp_f32_e32 v7, v7
	v_cmp_ngt_f32_e32 vcc, s1, v1
	v_ldexp_f32 v6, v6, v9
	s_mov_b32 s0, 0x42b17218
	v_ldexp_f32 v7, v7, v11
	v_cndmask_b32_e32 v6, 0, v6, vcc
	v_cmp_ngt_f32_e32 vcc, s1, v4
	v_mov_b32_e32 v8, 0x7f800000
	v_cndmask_b32_e32 v7, 0, v7, vcc
	v_cmp_nlt_f32_e32 vcc, s0, v1
	v_cndmask_b32_e32 v1, v8, v6, vcc
	v_cvt_f16_f32_e32 v6, v1
	v_cmp_nlt_f32_e32 vcc, s0, v4
	v_cndmask_b32_e32 v4, v8, v7, vcc
	v_fmac_f32_e32 v4, v2, v1
	v_mul_u32_u24_e32 v1, 0x10001, v6
	v_mov_b32_e32 v2, v4
	v_pk_mul_f16 v107, v107, v1
	v_pk_mul_f16 v109, v109, v1
	;; [unrolled: 1-line block ×8, first 2 shown]
	v_mov_b32_e32 v1, v5
.LBB20_15:
	v_div_scale_f32 v4, s[0:1], v2, v2, 1.0
	v_div_scale_f32 v5, vcc, 1.0, v2, 1.0
	s_mul_i32 s33, s33, s26
	s_load_dword s4, s[4:5], 0xd4
	v_add_u32_e32 v8, s33, v72
	v_mov_b32_e32 v9, 0
	v_cmp_eq_u32_e64 s[0:1], 0, v0
	v_cvt_f32_f16_sdwa v0, v109 dst_sel:DWORD dst_unused:UNUSED_PAD src0_sel:WORD_1
	v_cvt_f32_f16_e32 v6, v109
	v_cvt_f32_f16_sdwa v12, v107 dst_sel:DWORD dst_unused:UNUSED_PAD src0_sel:WORD_1
	v_cvt_f32_f16_e32 v13, v107
	s_waitcnt lgkmcnt(0)
	s_cmp_lg_u32 s4, 1
	v_cvt_f32_f16_sdwa v14, v108 dst_sel:DWORD dst_unused:UNUSED_PAD src0_sel:WORD_1
	v_cvt_f32_f16_e32 v15, v108
	v_rcp_f32_e32 v7, v4
	v_cvt_f32_f16_sdwa v16, v106 dst_sel:DWORD dst_unused:UNUSED_PAD src0_sel:WORD_1
	v_cvt_f32_f16_e32 v17, v106
	v_fma_f32 v10, -v4, v7, 1.0
	v_fmac_f32_e32 v7, v10, v7
	v_mul_f32_e32 v10, v5, v7
	v_fma_f32 v11, -v4, v10, v5
	v_fmac_f32_e32 v10, v11, v7
	v_fma_f32 v4, -v4, v10, v5
	v_div_fmas_f32 v7, v4, v7, v10
	v_mad_u64_u32 v[3:4], s[2:3], v8, s27, v[3:4]
	s_cselect_b64 s[2:3], -1, 0
	v_mov_b32_e32 v11, s21
	v_mul_lo_u32 v3, s4, v3
	s_and_b64 s[0:1], s[0:1], s[2:3]
	v_add_u32_e32 v3, s7, v3
	v_lshl_or_b32 v8, v3, 9, v19
	v_lshlrev_b64 v[4:5], 2, v[8:9]
	v_add_co_u32_e32 v10, vcc, s20, v4
	v_addc_co_u32_e32 v11, vcc, v11, v5, vcc
	v_div_fixup_f32 v4, v7, v2, 1.0
	v_cndmask_b32_e64 v18, v4, 1.0, s[2:3]
	v_mul_f32_e32 v7, v18, v0
	v_mul_f32_e32 v6, v18, v6
	v_mul_f32_e32 v5, v18, v12
	v_mul_f32_e32 v4, v18, v13
	global_store_dwordx4 v[10:11], v[4:7], off
	v_add_u32_e32 v10, 0x80, v8
	v_mov_b32_e32 v11, v9
	v_lshlrev_b64 v[10:11], 2, v[10:11]
	v_mov_b32_e32 v0, s21
	v_add_co_u32_e32 v10, vcc, s20, v10
	v_mul_f32_e32 v7, v18, v14
	v_mul_f32_e32 v6, v18, v15
	;; [unrolled: 1-line block ×4, first 2 shown]
	v_addc_co_u32_e32 v11, vcc, v0, v11, vcc
	global_store_dwordx4 v[10:11], v[4:7], off
	v_cvt_f32_f16_e32 v10, v104
	v_cvt_f32_f16_e32 v4, v105
	v_cvt_f32_f16_sdwa v0, v105 dst_sel:DWORD dst_unused:UNUSED_PAD src0_sel:WORD_1
	v_cvt_f32_f16_sdwa v5, v104 dst_sel:DWORD dst_unused:UNUSED_PAD src0_sel:WORD_1
	v_mov_b32_e32 v11, v9
	v_mul_f32_e32 v6, v18, v4
	v_mul_f32_e32 v4, v18, v10
	v_add_u32_e32 v10, 0x100, v8
	v_lshlrev_b64 v[10:11], 2, v[10:11]
	v_mul_f32_e32 v7, v18, v0
	v_mov_b32_e32 v0, s21
	v_add_co_u32_e32 v10, vcc, s20, v10
	v_mul_f32_e32 v5, v18, v5
	v_addc_co_u32_e32 v11, vcc, v0, v11, vcc
	v_cvt_f32_f16_sdwa v0, v102 dst_sel:DWORD dst_unused:UNUSED_PAD src0_sel:WORD_1
	global_store_dwordx4 v[10:11], v[4:7], off
	v_cvt_f32_f16_e32 v10, v103
	v_cvt_f32_f16_e32 v4, v102
	v_cvt_f32_f16_sdwa v5, v103 dst_sel:DWORD dst_unused:UNUSED_PAD src0_sel:WORD_1
	v_add_u32_e32 v8, 0x180, v8
	v_lshlrev_b64 v[8:9], 2, v[8:9]
	v_mul_f32_e32 v7, v18, v0
	v_mov_b32_e32 v0, s21
	v_add_co_u32_e32 v8, vcc, s20, v8
	v_mul_f32_e32 v6, v18, v4
	v_mul_f32_e32 v5, v18, v5
	v_mul_f32_e32 v4, v18, v10
	v_addc_co_u32_e32 v9, vcc, v0, v9, vcc
	global_store_dwordx4 v[8:9], v[4:7], off
	s_and_saveexec_b64 s[2:3], s[0:1]
	s_cbranch_execz .LBB20_17
; %bb.16:
	v_ashrrev_i32_e32 v4, 31, v3
	v_lshlrev_b64 v[3:4], 3, v[3:4]
	v_mov_b32_e32 v0, s23
	v_add_co_u32_e32 v3, vcc, s22, v3
	v_addc_co_u32_e32 v4, vcc, v0, v4, vcc
	global_store_dwordx2 v[3:4], v[1:2], off
.LBB20_17:
	s_endpgm
	.section	.rodata,"a",@progbits
	.p2align	6, 0x0
	.amdhsa_kernel _ZL15flash_attn_tileILi576ELi512ELi1ELi4ELb0EEvPKcS1_S1_S1_S1_PKiPfP15HIP_vector_typeIfLj2EEffffjfiS5_IjLj3EEiiiiiiiiiiiliiliiiiil
		.amdhsa_group_segment_fixed_size 14336
		.amdhsa_private_segment_fixed_size 8
		.amdhsa_kernarg_size 464
		.amdhsa_user_sgpr_count 6
		.amdhsa_user_sgpr_private_segment_buffer 1
		.amdhsa_user_sgpr_dispatch_ptr 0
		.amdhsa_user_sgpr_queue_ptr 0
		.amdhsa_user_sgpr_kernarg_segment_ptr 1
		.amdhsa_user_sgpr_dispatch_id 0
		.amdhsa_user_sgpr_flat_scratch_init 0
		.amdhsa_user_sgpr_private_segment_size 0
		.amdhsa_uses_dynamic_stack 0
		.amdhsa_system_sgpr_private_segment_wavefront_offset 1
		.amdhsa_system_sgpr_workgroup_id_x 1
		.amdhsa_system_sgpr_workgroup_id_y 1
		.amdhsa_system_sgpr_workgroup_id_z 1
		.amdhsa_system_sgpr_workgroup_info 0
		.amdhsa_system_vgpr_workitem_id 1
		.amdhsa_next_free_vgpr 128
		.amdhsa_next_free_sgpr 98
		.amdhsa_reserve_vcc 1
		.amdhsa_reserve_flat_scratch 0
		.amdhsa_float_round_mode_32 0
		.amdhsa_float_round_mode_16_64 0
		.amdhsa_float_denorm_mode_32 3
		.amdhsa_float_denorm_mode_16_64 3
		.amdhsa_dx10_clamp 1
		.amdhsa_ieee_mode 1
		.amdhsa_fp16_overflow 0
		.amdhsa_exception_fp_ieee_invalid_op 0
		.amdhsa_exception_fp_denorm_src 0
		.amdhsa_exception_fp_ieee_div_zero 0
		.amdhsa_exception_fp_ieee_overflow 0
		.amdhsa_exception_fp_ieee_underflow 0
		.amdhsa_exception_fp_ieee_inexact 0
		.amdhsa_exception_int_div_zero 0
	.end_amdhsa_kernel
	.section	.text._ZL15flash_attn_tileILi576ELi512ELi1ELi4ELb0EEvPKcS1_S1_S1_S1_PKiPfP15HIP_vector_typeIfLj2EEffffjfiS5_IjLj3EEiiiiiiiiiiiliiliiiiil,"axG",@progbits,_ZL15flash_attn_tileILi576ELi512ELi1ELi4ELb0EEvPKcS1_S1_S1_S1_PKiPfP15HIP_vector_typeIfLj2EEffffjfiS5_IjLj3EEiiiiiiiiiiiliiliiiiil,comdat
.Lfunc_end20:
	.size	_ZL15flash_attn_tileILi576ELi512ELi1ELi4ELb0EEvPKcS1_S1_S1_S1_PKiPfP15HIP_vector_typeIfLj2EEffffjfiS5_IjLj3EEiiiiiiiiiiiliiliiiiil, .Lfunc_end20-_ZL15flash_attn_tileILi576ELi512ELi1ELi4ELb0EEvPKcS1_S1_S1_S1_PKiPfP15HIP_vector_typeIfLj2EEffffjfiS5_IjLj3EEiiiiiiiiiiiliiliiiiil
                                        ; -- End function
	.set _ZL15flash_attn_tileILi576ELi512ELi1ELi4ELb0EEvPKcS1_S1_S1_S1_PKiPfP15HIP_vector_typeIfLj2EEffffjfiS5_IjLj3EEiiiiiiiiiiiliiliiiiil.num_vgpr, 128
	.set _ZL15flash_attn_tileILi576ELi512ELi1ELi4ELb0EEvPKcS1_S1_S1_S1_PKiPfP15HIP_vector_typeIfLj2EEffffjfiS5_IjLj3EEiiiiiiiiiiiliiliiiiil.num_agpr, 0
	.set _ZL15flash_attn_tileILi576ELi512ELi1ELi4ELb0EEvPKcS1_S1_S1_S1_PKiPfP15HIP_vector_typeIfLj2EEffffjfiS5_IjLj3EEiiiiiiiiiiiliiliiiiil.numbered_sgpr, 44
	.set _ZL15flash_attn_tileILi576ELi512ELi1ELi4ELb0EEvPKcS1_S1_S1_S1_PKiPfP15HIP_vector_typeIfLj2EEffffjfiS5_IjLj3EEiiiiiiiiiiiliiliiiiil.num_named_barrier, 0
	.set _ZL15flash_attn_tileILi576ELi512ELi1ELi4ELb0EEvPKcS1_S1_S1_S1_PKiPfP15HIP_vector_typeIfLj2EEffffjfiS5_IjLj3EEiiiiiiiiiiiliiliiiiil.private_seg_size, 8
	.set _ZL15flash_attn_tileILi576ELi512ELi1ELi4ELb0EEvPKcS1_S1_S1_S1_PKiPfP15HIP_vector_typeIfLj2EEffffjfiS5_IjLj3EEiiiiiiiiiiiliiliiiiil.uses_vcc, 1
	.set _ZL15flash_attn_tileILi576ELi512ELi1ELi4ELb0EEvPKcS1_S1_S1_S1_PKiPfP15HIP_vector_typeIfLj2EEffffjfiS5_IjLj3EEiiiiiiiiiiiliiliiiiil.uses_flat_scratch, 0
	.set _ZL15flash_attn_tileILi576ELi512ELi1ELi4ELb0EEvPKcS1_S1_S1_S1_PKiPfP15HIP_vector_typeIfLj2EEffffjfiS5_IjLj3EEiiiiiiiiiiiliiliiiiil.has_dyn_sized_stack, 0
	.set _ZL15flash_attn_tileILi576ELi512ELi1ELi4ELb0EEvPKcS1_S1_S1_S1_PKiPfP15HIP_vector_typeIfLj2EEffffjfiS5_IjLj3EEiiiiiiiiiiiliiliiiiil.has_recursion, 0
	.set _ZL15flash_attn_tileILi576ELi512ELi1ELi4ELb0EEvPKcS1_S1_S1_S1_PKiPfP15HIP_vector_typeIfLj2EEffffjfiS5_IjLj3EEiiiiiiiiiiiliiliiiiil.has_indirect_call, 0
	.section	.AMDGPU.csdata,"",@progbits
; Kernel info:
; codeLenInByte = 18740
; TotalNumSgprs: 48
; NumVgprs: 128
; ScratchSize: 8
; MemoryBound: 0
; FloatMode: 240
; IeeeMode: 1
; LDSByteSize: 14336 bytes/workgroup (compile time only)
; SGPRBlocks: 12
; VGPRBlocks: 31
; NumSGPRsForWavesPerEU: 102
; NumVGPRsForWavesPerEU: 128
; Occupancy: 2
; WaveLimiterHint : 1
; COMPUTE_PGM_RSRC2:SCRATCH_EN: 1
; COMPUTE_PGM_RSRC2:USER_SGPR: 6
; COMPUTE_PGM_RSRC2:TRAP_HANDLER: 0
; COMPUTE_PGM_RSRC2:TGID_X_EN: 1
; COMPUTE_PGM_RSRC2:TGID_Y_EN: 1
; COMPUTE_PGM_RSRC2:TGID_Z_EN: 1
; COMPUTE_PGM_RSRC2:TIDIG_COMP_CNT: 1
	.section	.text._ZL33flash_attn_stream_k_fixup_uniformILi512ELi1ELi4EEvPfPK15HIP_vector_typeIfLj2EEiiiiiiS1_IjLj3EES5_S5_,"axG",@progbits,_ZL33flash_attn_stream_k_fixup_uniformILi512ELi1ELi4EEvPfPK15HIP_vector_typeIfLj2EEiiiiiiS1_IjLj3EES5_S5_,comdat
	.globl	_ZL33flash_attn_stream_k_fixup_uniformILi512ELi1ELi4EEvPfPK15HIP_vector_typeIfLj2EEiiiiiiS1_IjLj3EES5_S5_ ; -- Begin function _ZL33flash_attn_stream_k_fixup_uniformILi512ELi1ELi4EEvPfPK15HIP_vector_typeIfLj2EEiiiiiiS1_IjLj3EES5_S5_
	.p2align	8
	.type	_ZL33flash_attn_stream_k_fixup_uniformILi512ELi1ELi4EEvPfPK15HIP_vector_typeIfLj2EEiiiiiiS1_IjLj3EES5_S5_,@function
_ZL33flash_attn_stream_k_fixup_uniformILi512ELi1ELi4EEvPfPK15HIP_vector_typeIfLj2EEiiiiiiS1_IjLj3EES5_S5_: ; @_ZL33flash_attn_stream_k_fixup_uniformILi512ELi1ELi4EEvPfPK15HIP_vector_typeIfLj2EEiiiiiiS1_IjLj3EES5_S5_
; %bb.0:
	s_load_dwordx8 s[12:19], s[4:5], 0x1c
	s_load_dwordx2 s[10:11], s[4:5], 0x10
	s_load_dwordx4 s[0:3], s[4:5], 0x3c
	s_waitcnt lgkmcnt(0)
	s_mul_hi_u32 s9, s15, s6
	s_add_i32 s9, s6, s9
	s_lshr_b32 s9, s9, s16
	s_mul_i32 s15, s9, s17
	s_sub_i32 s16, s6, s15
	s_mul_hi_u32 s15, s16, s18
	s_add_i32 s15, s16, s15
	s_lshr_b32 s15, s15, s19
	s_mul_i32 s0, s15, s0
	s_sub_i32 s0, s16, s0
	;; [unrolled: 5-line block ×3, first 2 shown]
	s_lshl_b32 s17, s1, 2
	s_add_i32 s16, s16, s7
	s_cmp_lt_i32 s16, s10
	s_cselect_b64 s[0:1], -1, 0
	s_add_i32 s17, s17, s8
	s_cmp_lt_i32 s17, s13
	s_cselect_b64 s[2:3], -1, 0
	s_and_b64 s[0:1], s[0:1], s[2:3]
	s_andn2_b64 vcc, exec, s[0:1]
	s_cbranch_vccnz .LBB21_6
; %bb.1:
	s_mul_i32 s9, s9, s10
	s_load_dwordx4 s[0:3], s[4:5], 0x0
	s_mul_i32 s15, s15, s13
	s_add_i32 s4, s16, s9
	s_mul_i32 s4, s4, s11
	s_add_i32 s5, s17, s15
	s_add_i32 s5, s5, s4
	v_lshl_or_b32 v1, s5, 9, v0
	v_ashrrev_i32_e32 v2, 31, v1
	v_lshlrev_b64 v[1:2], 2, v[1:2]
	s_waitcnt lgkmcnt(0)
	v_mov_b32_e32 v3, s1
	v_add_co_u32_e32 v1, vcc, s0, v1
	v_addc_co_u32_e32 v2, vcc, v3, v2, vcc
	global_load_dword v8, v[1:2], off
	s_mul_i32 s9, s14, s6
	s_add_i32 s4, s9, s14
	s_add_i32 s0, s7, s4
	s_lshl_b32 s0, s0, 2
	s_add_i32 s0, s0, s8
	s_add_i32 s0, s0, -4
	s_ashr_i32 s1, s0, 31
	s_lshl_b64 s[0:1], s[0:1], 3
	s_add_u32 s0, s2, s0
	s_addc_u32 s1, s3, s1
	s_load_dword s5, s[0:1], 0x4
	s_add_i32 s10, s4, -2
	s_cmp_lt_i32 s10, s9
	s_cbranch_scc1 .LBB21_4
; %bb.2:
	s_lshl_b32 s10, s12, 4
	s_ashr_i32 s11, s10, 31
	s_lshl_b64 s[10:11], s[10:11], 2
	s_add_u32 s10, s2, s10
	s_addc_u32 s13, s3, s11
	s_load_dword s0, s[0:1], 0x0
	s_add_i32 s6, s6, 1
	s_lshl_b32 s1, s8, 9
	s_add_i32 s12, s7, s12
	s_mul_i32 s6, s14, s6
	s_lshl_b32 s7, s7, 11
	s_add_i32 s12, s12, s4
	s_lshl_b32 s6, s6, 11
	s_add_i32 s1, s1, s7
	s_add_i32 s11, s4, -1
	s_lshl_b32 s4, s12, 2
	s_add_i32 s1, s1, s6
	s_add_i32 s4, s8, s4
	v_or_b32_e32 v0, s1, v0
	s_add_i32 s4, s4, -8
	v_add_u32_e32 v3, 0xfffff000, v0
	s_waitcnt lgkmcnt(0)
	v_mov_b32_e32 v7, s5
	v_mov_b32_e32 v6, s0
	;; [unrolled: 1-line block ×3, first 2 shown]
	s_mov_b32 s6, 0x3fb8aa3b
	s_mov_b32 s7, 0xc2ce8ed0
	;; [unrolled: 1-line block ×3, first 2 shown]
	v_mov_b32_e32 v5, 0x7f800000
	s_mov_b32 s12, 0xc1a00000
.LBB21_3:                               ; =>This Inner Loop Header: Depth=1
	v_ashrrev_i32_e32 v4, 31, v3
	v_lshlrev_b64 v[9:10], 2, v[3:4]
	s_ashr_i32 s5, s4, 31
	v_add_co_u32_e32 v9, vcc, s10, v9
	v_addc_co_u32_e32 v10, vcc, v0, v10, vcc
	global_load_dword v4, v[9:10], off
	s_lshl_b64 s[0:1], s[4:5], 3
	s_add_u32 s0, s2, s0
	s_addc_u32 s1, s3, s1
	s_load_dwordx2 s[14:15], s[0:1], 0x0
	s_waitcnt vmcnt(1)
	v_mov_b32_e32 v9, v8
	v_max_f32_e32 v8, v6, v6
	v_mov_b32_e32 v10, v7
	s_add_i32 s11, s11, -1
	s_waitcnt lgkmcnt(0)
	v_max_f32_e64 v7, s14, s14
	v_max_f32_e32 v7, v8, v7
	v_sub_f32_e32 v11, s14, v7
	v_sub_f32_e32 v8, v6, v7
	v_mul_f32_e32 v12, 0x3fb8aa3b, v11
	v_mov_b32_e32 v6, v7
	v_mul_f32_e32 v7, 0x3fb8aa3b, v8
	v_fma_f32 v15, v11, s6, -v12
	v_rndne_f32_e32 v16, v12
	v_fma_f32 v13, v8, s6, -v7
	v_rndne_f32_e32 v14, v7
	v_fmac_f32_e32 v15, 0x32a5705f, v11
	v_sub_f32_e32 v12, v12, v16
	v_fmac_f32_e32 v13, 0x32a5705f, v8
	v_sub_f32_e32 v7, v7, v14
	v_add_f32_e32 v12, v12, v15
	v_cvt_i32_f32_e32 v16, v16
	v_add_f32_e32 v7, v7, v13
	v_exp_f32_e32 v12, v12
	v_cvt_i32_f32_e32 v14, v14
	v_exp_f32_e32 v7, v7
	v_cmp_ngt_f32_e32 vcc, s7, v11
	v_ldexp_f32 v12, v12, v16
	v_cmp_ngt_f32_e64 s[0:1], s7, v8
	v_ldexp_f32 v7, v7, v14
	v_cndmask_b32_e32 v12, 0, v12, vcc
	v_cmp_nlt_f32_e32 vcc, s8, v11
	v_cndmask_b32_e64 v7, 0, v7, s[0:1]
	v_cmp_nlt_f32_e64 s[0:1], s8, v8
	v_cndmask_b32_e32 v12, v5, v12, vcc
	v_cmp_le_f32_e32 vcc, s12, v11
	v_cndmask_b32_e64 v7, v5, v7, s[0:1]
	v_cmp_le_f32_e64 s[0:1], s12, v8
	v_cndmask_b32_e32 v8, 0, v12, vcc
	s_add_i32 s4, s4, -4
	v_cndmask_b32_e64 v11, 0, v7, s[0:1]
	v_mul_f32_e32 v7, s15, v8
	v_add_u32_e32 v3, 0xfffff800, v3
	s_cmp_le_i32 s11, s9
	v_fmac_f32_e32 v7, v10, v11
	s_waitcnt vmcnt(0)
	v_mul_f32_e32 v8, v4, v8
	v_fmac_f32_e32 v8, v9, v11
	s_cbranch_scc0 .LBB21_3
	s_branch .LBB21_5
.LBB21_4:
	s_waitcnt lgkmcnt(0)
	v_mov_b32_e32 v7, s5
.LBB21_5:
	s_waitcnt vmcnt(0)
	v_div_scale_f32 v0, s[0:1], v7, v7, v8
	v_div_scale_f32 v3, vcc, v8, v7, v8
	v_rcp_f32_e32 v4, v0
	v_fma_f32 v5, -v0, v4, 1.0
	v_fmac_f32_e32 v4, v5, v4
	v_mul_f32_e32 v5, v3, v4
	v_fma_f32 v6, -v0, v5, v3
	v_fmac_f32_e32 v5, v6, v4
	v_fma_f32 v0, -v0, v5, v3
	v_div_fmas_f32 v0, v0, v4, v5
	v_div_fixup_f32 v0, v0, v7, v8
	global_store_dword v[1:2], v0, off
.LBB21_6:
	s_endpgm
	.section	.rodata,"a",@progbits
	.p2align	6, 0x0
	.amdhsa_kernel _ZL33flash_attn_stream_k_fixup_uniformILi512ELi1ELi4EEvPfPK15HIP_vector_typeIfLj2EEiiiiiiS1_IjLj3EES5_S5_
		.amdhsa_group_segment_fixed_size 0
		.amdhsa_private_segment_fixed_size 0
		.amdhsa_kernarg_size 76
		.amdhsa_user_sgpr_count 6
		.amdhsa_user_sgpr_private_segment_buffer 1
		.amdhsa_user_sgpr_dispatch_ptr 0
		.amdhsa_user_sgpr_queue_ptr 0
		.amdhsa_user_sgpr_kernarg_segment_ptr 1
		.amdhsa_user_sgpr_dispatch_id 0
		.amdhsa_user_sgpr_flat_scratch_init 0
		.amdhsa_user_sgpr_private_segment_size 0
		.amdhsa_uses_dynamic_stack 0
		.amdhsa_system_sgpr_private_segment_wavefront_offset 0
		.amdhsa_system_sgpr_workgroup_id_x 1
		.amdhsa_system_sgpr_workgroup_id_y 1
		.amdhsa_system_sgpr_workgroup_id_z 1
		.amdhsa_system_sgpr_workgroup_info 0
		.amdhsa_system_vgpr_workitem_id 0
		.amdhsa_next_free_vgpr 17
		.amdhsa_next_free_sgpr 20
		.amdhsa_reserve_vcc 1
		.amdhsa_reserve_flat_scratch 0
		.amdhsa_float_round_mode_32 0
		.amdhsa_float_round_mode_16_64 0
		.amdhsa_float_denorm_mode_32 3
		.amdhsa_float_denorm_mode_16_64 3
		.amdhsa_dx10_clamp 1
		.amdhsa_ieee_mode 1
		.amdhsa_fp16_overflow 0
		.amdhsa_exception_fp_ieee_invalid_op 0
		.amdhsa_exception_fp_denorm_src 0
		.amdhsa_exception_fp_ieee_div_zero 0
		.amdhsa_exception_fp_ieee_overflow 0
		.amdhsa_exception_fp_ieee_underflow 0
		.amdhsa_exception_fp_ieee_inexact 0
		.amdhsa_exception_int_div_zero 0
	.end_amdhsa_kernel
	.section	.text._ZL33flash_attn_stream_k_fixup_uniformILi512ELi1ELi4EEvPfPK15HIP_vector_typeIfLj2EEiiiiiiS1_IjLj3EES5_S5_,"axG",@progbits,_ZL33flash_attn_stream_k_fixup_uniformILi512ELi1ELi4EEvPfPK15HIP_vector_typeIfLj2EEiiiiiiS1_IjLj3EES5_S5_,comdat
.Lfunc_end21:
	.size	_ZL33flash_attn_stream_k_fixup_uniformILi512ELi1ELi4EEvPfPK15HIP_vector_typeIfLj2EEiiiiiiS1_IjLj3EES5_S5_, .Lfunc_end21-_ZL33flash_attn_stream_k_fixup_uniformILi512ELi1ELi4EEvPfPK15HIP_vector_typeIfLj2EEiiiiiiS1_IjLj3EES5_S5_
                                        ; -- End function
	.set _ZL33flash_attn_stream_k_fixup_uniformILi512ELi1ELi4EEvPfPK15HIP_vector_typeIfLj2EEiiiiiiS1_IjLj3EES5_S5_.num_vgpr, 17
	.set _ZL33flash_attn_stream_k_fixup_uniformILi512ELi1ELi4EEvPfPK15HIP_vector_typeIfLj2EEiiiiiiS1_IjLj3EES5_S5_.num_agpr, 0
	.set _ZL33flash_attn_stream_k_fixup_uniformILi512ELi1ELi4EEvPfPK15HIP_vector_typeIfLj2EEiiiiiiS1_IjLj3EES5_S5_.numbered_sgpr, 20
	.set _ZL33flash_attn_stream_k_fixup_uniformILi512ELi1ELi4EEvPfPK15HIP_vector_typeIfLj2EEiiiiiiS1_IjLj3EES5_S5_.num_named_barrier, 0
	.set _ZL33flash_attn_stream_k_fixup_uniformILi512ELi1ELi4EEvPfPK15HIP_vector_typeIfLj2EEiiiiiiS1_IjLj3EES5_S5_.private_seg_size, 0
	.set _ZL33flash_attn_stream_k_fixup_uniformILi512ELi1ELi4EEvPfPK15HIP_vector_typeIfLj2EEiiiiiiS1_IjLj3EES5_S5_.uses_vcc, 1
	.set _ZL33flash_attn_stream_k_fixup_uniformILi512ELi1ELi4EEvPfPK15HIP_vector_typeIfLj2EEiiiiiiS1_IjLj3EES5_S5_.uses_flat_scratch, 0
	.set _ZL33flash_attn_stream_k_fixup_uniformILi512ELi1ELi4EEvPfPK15HIP_vector_typeIfLj2EEiiiiiiS1_IjLj3EES5_S5_.has_dyn_sized_stack, 0
	.set _ZL33flash_attn_stream_k_fixup_uniformILi512ELi1ELi4EEvPfPK15HIP_vector_typeIfLj2EEiiiiiiS1_IjLj3EES5_S5_.has_recursion, 0
	.set _ZL33flash_attn_stream_k_fixup_uniformILi512ELi1ELi4EEvPfPK15HIP_vector_typeIfLj2EEiiiiiiS1_IjLj3EES5_S5_.has_indirect_call, 0
	.section	.AMDGPU.csdata,"",@progbits
; Kernel info:
; codeLenInByte = 828
; TotalNumSgprs: 24
; NumVgprs: 17
; ScratchSize: 0
; MemoryBound: 0
; FloatMode: 240
; IeeeMode: 1
; LDSByteSize: 0 bytes/workgroup (compile time only)
; SGPRBlocks: 2
; VGPRBlocks: 4
; NumSGPRsForWavesPerEU: 24
; NumVGPRsForWavesPerEU: 17
; Occupancy: 10
; WaveLimiterHint : 0
; COMPUTE_PGM_RSRC2:SCRATCH_EN: 0
; COMPUTE_PGM_RSRC2:USER_SGPR: 6
; COMPUTE_PGM_RSRC2:TRAP_HANDLER: 0
; COMPUTE_PGM_RSRC2:TGID_X_EN: 1
; COMPUTE_PGM_RSRC2:TGID_Y_EN: 1
; COMPUTE_PGM_RSRC2:TGID_Z_EN: 1
; COMPUTE_PGM_RSRC2:TIDIG_COMP_CNT: 0
	.section	.text._ZL33flash_attn_stream_k_fixup_generalILi512ELi1ELi4EEvPfPK15HIP_vector_typeIfLj2EEiiiiS1_IjLj3EES5_S5_S5_,"axG",@progbits,_ZL33flash_attn_stream_k_fixup_generalILi512ELi1ELi4EEvPfPK15HIP_vector_typeIfLj2EEiiiiS1_IjLj3EES5_S5_S5_,comdat
	.globl	_ZL33flash_attn_stream_k_fixup_generalILi512ELi1ELi4EEvPfPK15HIP_vector_typeIfLj2EEiiiiS1_IjLj3EES5_S5_S5_ ; -- Begin function _ZL33flash_attn_stream_k_fixup_generalILi512ELi1ELi4EEvPfPK15HIP_vector_typeIfLj2EEiiiiS1_IjLj3EES5_S5_S5_
	.p2align	8
	.type	_ZL33flash_attn_stream_k_fixup_generalILi512ELi1ELi4EEvPfPK15HIP_vector_typeIfLj2EEiiiiS1_IjLj3EES5_S5_S5_,@function
_ZL33flash_attn_stream_k_fixup_generalILi512ELi1ELi4EEvPfPK15HIP_vector_typeIfLj2EEiiiiS1_IjLj3EES5_S5_S5_: ; @_ZL33flash_attn_stream_k_fixup_generalILi512ELi1ELi4EEvPfPK15HIP_vector_typeIfLj2EEiiiiS1_IjLj3EES5_S5_S5_
; %bb.0:
	s_load_dwordx4 s[0:3], s[4:5], 0x10
	s_load_dword s9, s[4:5], 0x50
	s_mov_b32 s12, 0
	s_waitcnt lgkmcnt(0)
	s_mul_hi_i32 s13, s3, s6
	s_cmp_lg_u64 s[12:13], 0
	s_mul_i32 s18, s3, s6
	s_cbranch_scc0 .LBB22_20
; %bb.1:
	s_add_u32 s10, s9, 0
	s_addc_u32 s11, 0, 0
	s_xor_b64 s[10:11], s[10:11], 0
	v_cvt_f32_u32_e32 v1, s10
	v_cvt_f32_u32_e32 v2, s11
	s_sub_u32 s12, 0, s10
	s_subb_u32 s19, 0, s11
	v_madmk_f32 v1, v2, 0x4f800000, v1
	v_rcp_f32_e32 v1, v1
	v_mul_f32_e32 v1, 0x5f7ffffc, v1
	v_mul_f32_e32 v2, 0x2f800000, v1
	v_trunc_f32_e32 v2, v2
	v_madmk_f32 v1, v2, 0xcf800000, v1
	v_cvt_u32_f32_e32 v2, v2
	v_cvt_u32_f32_e32 v1, v1
	v_readfirstlane_b32 s20, v2
	v_readfirstlane_b32 s14, v1
	s_mul_i32 s15, s12, s20
	s_mul_hi_u32 s22, s12, s14
	s_mul_i32 s21, s19, s14
	s_add_i32 s15, s22, s15
	s_add_i32 s15, s15, s21
	s_mul_i32 s23, s12, s14
	s_mul_i32 s22, s14, s15
	s_mul_hi_u32 s24, s14, s23
	s_mul_hi_u32 s21, s14, s15
	s_add_u32 s22, s24, s22
	s_addc_u32 s21, 0, s21
	s_mul_hi_u32 s25, s20, s23
	s_mul_i32 s23, s20, s23
	s_add_u32 s22, s22, s23
	s_mul_hi_u32 s24, s20, s15
	s_addc_u32 s21, s21, s25
	s_addc_u32 s22, s24, 0
	s_mul_i32 s15, s20, s15
	s_add_u32 s15, s21, s15
	s_addc_u32 s21, 0, s22
	s_add_u32 s22, s14, s15
	s_cselect_b64 s[14:15], -1, 0
	s_cmp_lg_u64 s[14:15], 0
	s_addc_u32 s20, s20, s21
	s_mul_i32 s14, s12, s20
	s_mul_hi_u32 s15, s12, s22
	s_add_i32 s14, s15, s14
	s_mul_i32 s19, s19, s22
	s_add_i32 s14, s14, s19
	s_mul_i32 s12, s12, s22
	s_mul_hi_u32 s19, s20, s12
	s_mul_i32 s21, s20, s12
	s_mul_i32 s24, s22, s14
	s_mul_hi_u32 s12, s22, s12
	s_mul_hi_u32 s23, s22, s14
	s_add_u32 s12, s12, s24
	s_addc_u32 s23, 0, s23
	s_add_u32 s12, s12, s21
	s_mul_hi_u32 s15, s20, s14
	s_addc_u32 s12, s23, s19
	s_addc_u32 s15, s15, 0
	s_mul_i32 s14, s20, s14
	s_add_u32 s12, s12, s14
	s_addc_u32 s19, 0, s15
	s_add_u32 s21, s22, s12
	s_cselect_b64 s[14:15], -1, 0
	s_cmp_lg_u64 s[14:15], 0
	s_addc_u32 s19, s20, s19
	s_ashr_i32 s14, s13, 31
	s_add_u32 s12, s18, s14
	s_mov_b32 s15, s14
	s_addc_u32 s13, s13, s14
	s_xor_b64 s[12:13], s[12:13], s[14:15]
	s_mul_i32 s22, s12, s19
	s_mul_hi_u32 s23, s12, s21
	s_mul_hi_u32 s20, s12, s19
	s_add_u32 s22, s23, s22
	s_addc_u32 s20, 0, s20
	s_mul_hi_u32 s24, s13, s21
	s_mul_i32 s21, s13, s21
	s_add_u32 s21, s22, s21
	s_mul_hi_u32 s23, s13, s19
	s_addc_u32 s20, s20, s24
	s_addc_u32 s21, s23, 0
	s_mul_i32 s19, s13, s19
	s_add_u32 s19, s20, s19
	s_addc_u32 s24, 0, s21
	s_mul_i32 s20, s10, s24
	s_mul_hi_u32 s21, s10, s19
	s_add_i32 s20, s21, s20
	s_mul_i32 s21, s11, s19
	s_add_i32 s25, s20, s21
	s_sub_i32 s22, s13, s25
	s_mul_i32 s20, s10, s19
	s_sub_u32 s12, s12, s20
	s_cselect_b64 s[20:21], -1, 0
	s_cmp_lg_u64 s[20:21], 0
	s_subb_u32 s26, s22, s11
	s_sub_u32 s27, s12, s10
	s_cselect_b64 s[22:23], -1, 0
	s_cmp_lg_u64 s[22:23], 0
	s_subb_u32 s22, s26, 0
	s_cmp_ge_u32 s22, s11
	s_cselect_b32 s23, -1, 0
	s_cmp_ge_u32 s27, s10
	s_cselect_b32 s26, -1, 0
	s_cmp_eq_u32 s22, s11
	s_cselect_b32 s22, s26, s23
	s_add_u32 s23, s19, 1
	s_addc_u32 s26, s24, 0
	s_add_u32 s27, s19, 2
	s_addc_u32 s28, s24, 0
	s_cmp_lg_u32 s22, 0
	s_cselect_b32 s22, s27, s23
	s_cselect_b32 s23, s28, s26
	s_cmp_lg_u64 s[20:21], 0
	s_subb_u32 s13, s13, s25
	s_cmp_ge_u32 s13, s11
	s_cselect_b32 s20, -1, 0
	s_cmp_ge_u32 s12, s10
	s_cselect_b32 s10, -1, 0
	s_cmp_eq_u32 s13, s11
	s_cselect_b32 s10, s10, s20
	s_cmp_lg_u32 s10, 0
	s_cselect_b32 s11, s23, s24
	s_cselect_b32 s10, s22, s19
	s_xor_b64 s[12:13], s[14:15], 0
	s_xor_b64 s[10:11], s[10:11], s[12:13]
	s_sub_u32 s10, s10, s12
	s_load_dwordx4 s[12:15], s[4:5], 0x44
	s_cbranch_execnz .LBB22_3
.LBB22_2:
	v_cvt_f32_u32_e32 v1, s9
	s_sub_i32 s10, 0, s9
	v_rcp_iflag_f32_e32 v1, v1
	v_mul_f32_e32 v1, 0x4f7ffffe, v1
	v_cvt_u32_f32_e32 v1, v1
	v_readfirstlane_b32 s11, v1
	s_mul_i32 s10, s10, s11
	s_mul_hi_u32 s10, s11, s10
	s_add_i32 s11, s11, s10
	s_mul_hi_u32 s10, s18, s11
	s_waitcnt lgkmcnt(0)
	s_mul_i32 s15, s10, s9
	s_sub_i32 s15, s18, s15
	s_add_i32 s11, s10, 1
	s_sub_i32 s16, s15, s9
	s_cmp_ge_u32 s15, s9
	s_cselect_b32 s10, s11, s10
	s_cselect_b32 s15, s16, s15
	s_add_i32 s11, s10, 1
	s_cmp_ge_u32 s15, s9
	s_cselect_b32 s10, s11, s10
.LBB22_3:
	s_add_i32 s11, s6, 1
	s_mul_hi_i32 s21, s3, s11
	s_mov_b32 s20, 0
	s_cmp_lg_u64 s[20:21], 0
	s_mul_i32 s11, s3, s11
	s_cbranch_scc0 .LBB22_21
; %bb.4:
	s_add_u32 s16, s9, 0
	s_addc_u32 s17, 0, 0
	s_xor_b64 s[18:19], s[16:17], 0
	v_cvt_f32_u32_e32 v1, s18
	v_cvt_f32_u32_e32 v2, s19
	s_waitcnt lgkmcnt(0)
	s_sub_u32 s15, 0, s18
	s_subb_u32 s20, 0, s19
	v_madmk_f32 v1, v2, 0x4f800000, v1
	v_rcp_f32_e32 v1, v1
	v_mul_f32_e32 v1, 0x5f7ffffc, v1
	v_mul_f32_e32 v2, 0x2f800000, v1
	v_trunc_f32_e32 v2, v2
	v_madmk_f32 v1, v2, 0xcf800000, v1
	v_cvt_u32_f32_e32 v2, v2
	v_cvt_u32_f32_e32 v1, v1
	v_readfirstlane_b32 s24, v2
	v_readfirstlane_b32 s22, v1
	s_mul_i32 s23, s15, s24
	s_mul_hi_u32 s26, s15, s22
	s_mul_i32 s25, s20, s22
	s_add_i32 s23, s26, s23
	s_add_i32 s23, s23, s25
	s_mul_i32 s27, s15, s22
	s_mul_i32 s26, s22, s23
	s_mul_hi_u32 s28, s22, s27
	s_mul_hi_u32 s25, s22, s23
	s_add_u32 s26, s28, s26
	s_addc_u32 s25, 0, s25
	s_mul_hi_u32 s29, s24, s27
	s_mul_i32 s27, s24, s27
	s_add_u32 s26, s26, s27
	s_mul_hi_u32 s28, s24, s23
	s_addc_u32 s25, s25, s29
	s_addc_u32 s26, s28, 0
	s_mul_i32 s23, s24, s23
	s_add_u32 s23, s25, s23
	s_addc_u32 s25, 0, s26
	s_add_u32 s26, s22, s23
	s_cselect_b64 s[22:23], -1, 0
	s_cmp_lg_u64 s[22:23], 0
	s_addc_u32 s24, s24, s25
	s_mul_i32 s22, s15, s24
	s_mul_hi_u32 s23, s15, s26
	s_add_i32 s22, s23, s22
	s_mul_i32 s20, s20, s26
	s_add_i32 s22, s22, s20
	s_mul_i32 s15, s15, s26
	s_mul_hi_u32 s23, s24, s15
	s_mul_i32 s25, s24, s15
	s_mul_i32 s28, s26, s22
	s_mul_hi_u32 s15, s26, s15
	s_mul_hi_u32 s27, s26, s22
	s_add_u32 s15, s15, s28
	s_addc_u32 s27, 0, s27
	s_add_u32 s15, s15, s25
	s_mul_hi_u32 s20, s24, s22
	s_addc_u32 s15, s27, s23
	s_addc_u32 s20, s20, 0
	s_mul_i32 s22, s24, s22
	s_add_u32 s15, s15, s22
	s_addc_u32 s20, 0, s20
	s_add_u32 s15, s26, s15
	s_cselect_b64 s[22:23], -1, 0
	s_cmp_lg_u64 s[22:23], 0
	s_addc_u32 s24, s24, s20
	s_ashr_i32 s22, s21, 31
	s_add_u32 s20, s11, s22
	s_mov_b32 s23, s22
	s_addc_u32 s21, s21, s22
	s_xor_b64 s[20:21], s[20:21], s[22:23]
	s_mul_i32 s26, s20, s24
	s_mul_hi_u32 s27, s20, s15
	s_mul_hi_u32 s25, s20, s24
	s_add_u32 s26, s27, s26
	s_addc_u32 s25, 0, s25
	s_mul_hi_u32 s28, s21, s15
	s_mul_i32 s15, s21, s15
	s_add_u32 s15, s26, s15
	s_mul_hi_u32 s27, s21, s24
	s_addc_u32 s15, s25, s28
	s_addc_u32 s25, s27, 0
	s_mul_i32 s24, s21, s24
	s_add_u32 s15, s15, s24
	s_addc_u32 s28, 0, s25
	s_mul_i32 s24, s18, s28
	s_mul_hi_u32 s25, s18, s15
	s_add_i32 s24, s25, s24
	s_mul_i32 s25, s19, s15
	s_add_i32 s29, s24, s25
	s_sub_i32 s26, s21, s29
	s_mul_i32 s24, s18, s15
	s_sub_u32 s20, s20, s24
	s_cselect_b64 s[24:25], -1, 0
	s_cmp_lg_u64 s[24:25], 0
	s_subb_u32 s30, s26, s19
	s_sub_u32 s31, s20, s18
	s_cselect_b64 s[26:27], -1, 0
	s_cmp_lg_u64 s[26:27], 0
	s_subb_u32 s26, s30, 0
	s_cmp_ge_u32 s26, s19
	s_cselect_b32 s27, -1, 0
	s_cmp_ge_u32 s31, s18
	s_cselect_b32 s30, -1, 0
	s_cmp_eq_u32 s26, s19
	s_cselect_b32 s26, s30, s27
	s_add_u32 s27, s15, 1
	s_addc_u32 s30, s28, 0
	s_add_u32 s31, s15, 2
	s_addc_u32 s33, s28, 0
	s_cmp_lg_u32 s26, 0
	s_cselect_b32 s26, s31, s27
	s_cselect_b32 s27, s33, s30
	s_cmp_lg_u64 s[24:25], 0
	s_subb_u32 s21, s21, s29
	s_cmp_ge_u32 s21, s19
	s_cselect_b32 s24, -1, 0
	s_cmp_ge_u32 s20, s18
	s_cselect_b32 s18, -1, 0
	s_cmp_eq_u32 s21, s19
	s_cselect_b32 s18, s18, s24
	s_cmp_lg_u32 s18, 0
	s_cselect_b32 s19, s27, s28
	s_cselect_b32 s18, s26, s15
	s_xor_b64 s[20:21], s[22:23], 0
	s_xor_b64 s[18:19], s[18:19], s[20:21]
	s_sub_u32 s18, s18, s20
	s_cbranch_execnz .LBB22_6
.LBB22_5:
	v_cvt_f32_u32_e32 v1, s9
	s_waitcnt lgkmcnt(0)
	s_sub_i32 s15, 0, s9
	v_rcp_iflag_f32_e32 v1, v1
	v_mul_f32_e32 v1, 0x4f7ffffe, v1
	v_cvt_u32_f32_e32 v1, v1
	v_readfirstlane_b32 s16, v1
	s_mul_i32 s15, s15, s16
	s_mul_hi_u32 s15, s16, s15
	s_add_i32 s16, s16, s15
	s_mul_hi_u32 s15, s11, s16
	s_mul_i32 s17, s15, s9
	s_sub_i32 s11, s11, s17
	s_add_i32 s16, s15, 1
	s_sub_i32 s17, s11, s9
	s_cmp_ge_u32 s11, s9
	s_cselect_b32 s15, s16, s15
	s_cselect_b32 s11, s17, s11
	s_add_i32 s16, s15, 1
	s_cmp_ge_u32 s11, s9
	s_cselect_b32 s18, s16, s15
.LBB22_6:
	s_cmp_eq_u32 s10, s18
	s_waitcnt lgkmcnt(0)
	s_mul_hi_u32 s11, s10, s12
	s_cselect_b64 s[16:17], -1, 0
	s_add_i32 s11, s11, s10
	s_lshr_b32 s11, s11, s13
	s_mul_i32 s15, s11, s14
	s_cmp_eq_u32 s15, s10
	s_mul_hi_u32 s15, s18, s12
	s_cselect_b64 s[20:21], -1, 0
	s_add_i32 s15, s15, s18
	s_lshr_b32 s15, s15, s13
	s_cmp_eq_u32 s11, s15
	s_mul_i32 s15, s15, s14
	s_cselect_b64 s[22:23], -1, 0
	s_cmp_lg_u32 s15, s18
	s_cselect_b64 s[18:19], -1, 0
	s_and_b64 s[18:19], s[22:23], s[18:19]
	s_or_b64 s[16:17], s[16:17], s[20:21]
	s_or_b64 s[16:17], s[16:17], s[18:19]
	s_and_b64 vcc, exec, s[16:17]
	s_cbranch_vccnz .LBB22_23
; %bb.7:
	s_load_dwordx8 s[20:27], s[4:5], 0x20
	s_load_dword s15, s[4:5], 0x40
	s_waitcnt lgkmcnt(0)
	s_mul_hi_u32 s16, s10, s20
	s_add_i32 s16, s16, s10
	s_lshr_b32 s20, s16, s21
	s_mul_i32 s16, s20, s22
	s_sub_i32 s16, s10, s16
	s_mul_hi_u32 s17, s16, s23
	s_add_i32 s17, s16, s17
	s_lshr_b32 s21, s17, s24
	s_mul_i32 s17, s21, s25
	s_sub_i32 s16, s16, s17
	s_mul_hi_u32 s17, s16, s26
	s_add_i32 s17, s16, s17
	s_lshr_b32 s17, s17, s27
	s_mul_i32 s15, s17, s15
	s_sub_i32 s15, s16, s15
	s_mul_hi_u32 s16, s15, s12
	s_add_i32 s15, s15, s16
	s_lshr_b32 s23, s15, s13
	s_lshl_b32 s24, s17, 2
	s_add_i32 s23, s23, s7
	s_cmp_lt_i32 s23, s0
	s_cselect_b64 s[16:17], -1, 0
	s_add_i32 s24, s24, s8
	s_cmp_lt_i32 s24, s2
	s_cselect_b64 s[18:19], -1, 0
	s_and_b64 s[16:17], s[16:17], s[18:19]
	s_andn2_b64 vcc, exec, s[16:17]
	s_cbranch_vccnz .LBB22_23
; %bb.8:
	s_load_dwordx4 s[16:19], s[4:5], 0x0
	s_mov_b32 s4, 0
	s_lshl_b32 s26, s9, 4
	s_mov_b32 s27, s4
	s_lshl_b64 s[26:27], s[26:27], 2
	s_waitcnt lgkmcnt(0)
	s_add_u32 s15, s18, s26
	s_mul_i32 s20, s20, s0
	s_addc_u32 s22, s19, s27
	s_mul_i32 s21, s21, s2
	s_add_i32 s0, s23, s20
	s_mul_i32 s0, s0, s1
	s_add_i32 s1, s24, s21
	s_add_i32 s1, s1, s0
	v_lshl_or_b32 v1, s1, 9, v0
	v_ashrrev_i32_e32 v2, 31, v1
	v_lshlrev_b64 v[1:2], 2, v[1:2]
	v_mov_b32_e32 v3, s17
	v_add_co_u32_e32 v1, vcc, s16, v1
	v_addc_co_u32_e32 v2, vcc, v3, v2, vcc
	global_load_dword v3, v[1:2], off
	s_add_i32 s0, s7, s6
	v_cvt_f32_u32_e32 v4, s9
	s_lshl_b32 s0, s0, 2
	s_add_i32 s0, s0, s8
	s_ashr_i32 s1, s0, 31
	s_lshl_b64 s[0:1], s[0:1], 3
	v_rcp_iflag_f32_e32 v4, v4
	s_add_u32 s0, s18, s0
	s_addc_u32 s1, s19, s1
	s_load_dwordx2 s[0:1], s[0:1], 0x0
	v_mul_f32_e32 v4, 0x4f7ffffe, v4
	v_cvt_u32_f32_e32 v4, v4
	s_add_i32 s25, s6, -1
	v_lshl_or_b32 v0, s8, 9, v0
	s_waitcnt lgkmcnt(0)
	v_mov_b32_e32 v6, s1
	v_mov_b32_e32 v7, s0
	s_mov_b32 s2, 0x3fb8aa3b
	s_mov_b32 s6, 0xc2ce8ed0
	;; [unrolled: 1-line block ×4, first 2 shown]
	v_mov_b32_e32 v5, 0x7f800000
	s_mul_hi_i32 s5, s25, s3
	s_cmp_lg_u64 s[4:5], 0
	s_mul_i32 s20, s25, s3
	s_cbranch_scc0 .LBB22_19
.LBB22_9:
	s_add_u32 s0, s9, 0
	s_addc_u32 s1, 0, 0
	s_xor_b64 s[0:1], s[0:1], 0
	v_cvt_f32_u32_e32 v8, s0
	v_cvt_f32_u32_e32 v9, s1
	s_sub_u32 s21, 0, s0
	s_subb_u32 s26, 0, s1
	v_mac_f32_e32 v8, 0x4f800000, v9
	v_rcp_f32_e32 v8, v8
	v_mul_f32_e32 v8, 0x5f7ffffc, v8
	v_mul_f32_e32 v9, 0x2f800000, v8
	v_trunc_f32_e32 v9, v9
	v_mac_f32_e32 v8, 0xcf800000, v9
	v_cvt_u32_f32_e32 v9, v9
	v_cvt_u32_f32_e32 v8, v8
	v_readfirstlane_b32 s27, v9
	v_readfirstlane_b32 s16, v8
	s_mul_i32 s17, s21, s27
	s_mul_hi_u32 s29, s21, s16
	s_mul_i32 s28, s26, s16
	s_add_i32 s17, s29, s17
	s_mul_i32 s30, s21, s16
	s_add_i32 s17, s17, s28
	s_mul_i32 s29, s16, s17
	s_mul_hi_u32 s31, s16, s30
	s_mul_hi_u32 s28, s16, s17
	s_add_u32 s29, s31, s29
	s_addc_u32 s28, 0, s28
	s_mul_hi_u32 s33, s27, s30
	s_mul_i32 s30, s27, s30
	s_add_u32 s29, s29, s30
	s_mul_hi_u32 s31, s27, s17
	s_addc_u32 s28, s28, s33
	s_addc_u32 s29, s31, 0
	s_mul_i32 s17, s27, s17
	s_add_u32 s17, s28, s17
	s_addc_u32 s28, 0, s29
	s_add_u32 s29, s16, s17
	s_cselect_b64 s[16:17], -1, 0
	s_cmp_lg_u64 s[16:17], 0
	s_addc_u32 s27, s27, s28
	s_mul_i32 s16, s21, s27
	s_mul_hi_u32 s17, s21, s29
	s_add_i32 s16, s17, s16
	s_mul_i32 s26, s26, s29
	s_add_i32 s16, s16, s26
	s_mul_i32 s21, s21, s29
	s_mul_hi_u32 s26, s27, s21
	s_mul_i32 s28, s27, s21
	s_mul_i32 s31, s29, s16
	s_mul_hi_u32 s21, s29, s21
	s_mul_hi_u32 s30, s29, s16
	s_add_u32 s21, s21, s31
	s_addc_u32 s30, 0, s30
	s_add_u32 s21, s21, s28
	s_mul_hi_u32 s17, s27, s16
	s_addc_u32 s21, s30, s26
	s_addc_u32 s17, s17, 0
	s_mul_i32 s16, s27, s16
	s_add_u32 s16, s21, s16
	s_addc_u32 s21, 0, s17
	s_add_u32 s28, s29, s16
	s_cselect_b64 s[16:17], -1, 0
	s_cmp_lg_u64 s[16:17], 0
	s_addc_u32 s21, s27, s21
	s_ashr_i32 s16, s5, 31
	s_add_u32 s26, s20, s16
	s_mov_b32 s17, s16
	s_addc_u32 s27, s5, s16
	s_xor_b64 s[26:27], s[26:27], s[16:17]
	s_mul_i32 s29, s26, s21
	s_mul_hi_u32 s30, s26, s28
	s_mul_hi_u32 s5, s26, s21
	s_add_u32 s29, s30, s29
	s_addc_u32 s5, 0, s5
	s_mul_hi_u32 s31, s27, s28
	s_mul_i32 s28, s27, s28
	s_add_u32 s28, s29, s28
	s_mul_hi_u32 s30, s27, s21
	s_addc_u32 s5, s5, s31
	s_addc_u32 s28, s30, 0
	s_mul_i32 s21, s27, s21
	s_add_u32 s5, s5, s21
	s_addc_u32 s21, 0, s28
	s_mul_i32 s28, s0, s21
	s_mul_hi_u32 s29, s0, s5
	s_add_i32 s28, s29, s28
	s_mul_i32 s29, s1, s5
	s_add_i32 s33, s28, s29
	s_sub_i32 s30, s27, s33
	s_mul_i32 s28, s0, s5
	s_sub_u32 s26, s26, s28
	s_cselect_b64 s[28:29], -1, 0
	s_cmp_lg_u64 s[28:29], 0
	s_subb_u32 s34, s30, s1
	s_sub_u32 s35, s26, s0
	s_cselect_b64 s[30:31], -1, 0
	s_cmp_lg_u64 s[30:31], 0
	s_subb_u32 s30, s34, 0
	s_cmp_ge_u32 s30, s1
	s_cselect_b32 s31, -1, 0
	s_cmp_ge_u32 s35, s0
	s_cselect_b32 s34, -1, 0
	s_cmp_eq_u32 s30, s1
	s_cselect_b32 s30, s34, s31
	s_add_u32 s31, s5, 1
	s_addc_u32 s34, s21, 0
	s_add_u32 s35, s5, 2
	s_addc_u32 s36, s21, 0
	s_cmp_lg_u32 s30, 0
	s_cselect_b32 s30, s35, s31
	s_cselect_b32 s31, s36, s34
	s_cmp_lg_u64 s[28:29], 0
	s_subb_u32 s27, s27, s33
	s_cmp_ge_u32 s27, s1
	s_cselect_b32 s28, -1, 0
	s_cmp_ge_u32 s26, s0
	s_cselect_b32 s0, -1, 0
	s_cmp_eq_u32 s27, s1
	s_cselect_b32 s0, s0, s28
	s_cmp_lg_u32 s0, 0
	s_cselect_b32 s1, s31, s21
	s_cselect_b32 s0, s30, s5
	s_xor_b64 s[16:17], s[16:17], 0
	s_xor_b64 s[0:1], s[0:1], s[16:17]
	s_sub_u32 s16, s0, s16
	s_cbranch_execnz .LBB22_11
.LBB22_10:
	s_sub_i32 s0, 0, s9
	v_readfirstlane_b32 s1, v4
	s_mul_i32 s0, s0, s1
	s_mul_hi_u32 s0, s1, s0
	s_add_i32 s1, s1, s0
	s_mul_hi_u32 s0, s20, s1
	s_mul_i32 s5, s0, s9
	s_sub_i32 s5, s20, s5
	s_add_i32 s1, s0, 1
	s_sub_i32 s16, s5, s9
	s_cmp_ge_u32 s5, s9
	s_cselect_b32 s0, s1, s0
	s_cselect_b32 s5, s16, s5
	s_add_i32 s1, s0, 1
	s_cmp_ge_u32 s5, s9
	s_cselect_b32 s16, s1, s0
.LBB22_11:
	s_cmp_lg_u32 s10, s16
	s_mov_b64 s[20:21], -1
                                        ; implicit-def: $sgpr0_sgpr1
                                        ; implicit-def: $vgpr10
                                        ; implicit-def: $vgpr8
                                        ; implicit-def: $vgpr9
                                        ; implicit-def: $sgpr5
                                        ; implicit-def: $sgpr17
	s_cbranch_scc1 .LBB22_14
; %bb.12:
	s_andn2_b64 vcc, exec, s[20:21]
	s_cbranch_vccz .LBB22_17
.LBB22_13:
	s_andn2_b64 vcc, exec, s[0:1]
	s_cbranch_vccnz .LBB22_18
	s_branch .LBB22_22
.LBB22_14:
	s_add_i32 s26, s25, s7
	s_add_i32 s0, s26, s9
	s_lshl_b32 s0, s0, 2
	s_add_i32 s0, s0, s8
	s_mov_b32 s1, s4
	s_lshl_b64 s[0:1], s[0:1], 3
	s_add_u32 s20, s18, s0
	s_mul_hi_u32 s0, s16, s12
	s_addc_u32 s21, s19, s1
	s_add_i32 s0, s0, s16
	s_lshr_b32 s5, s0, s13
	s_mul_i32 s0, s5, s14
	s_cmp_eq_u32 s0, s16
	s_cselect_b64 s[0:1], -1, 0
	s_cmp_lt_u32 s5, s11
	s_cselect_b64 s[28:29], -1, 0
	s_or_b64 s[28:29], s[28:29], s[0:1]
	s_mov_b64 s[0:1], -1
	s_and_b64 vcc, exec, s[28:29]
	s_mov_b32 s5, s25
	s_mov_b32 s17, s10
	s_cbranch_vccnz .LBB22_16
; %bb.15:
	s_add_i32 s5, s25, -1
	s_mov_b64 s[0:1], 0
	s_mov_b32 s17, s16
.LBB22_16:
	v_lshl_add_u32 v8, s26, 11, v0
	v_ashrrev_i32_e32 v9, 31, v8
	v_lshlrev_b64 v[8:9], 2, v[8:9]
	v_mov_b32_e32 v10, s22
	v_add_co_u32_e32 v8, vcc, s15, v8
	v_addc_co_u32_e32 v9, vcc, v10, v9, vcc
	global_load_dword v10, v[8:9], off
	s_load_dwordx2 s[20:21], s[20:21], 0x0
	v_max_f32_e32 v8, v7, v7
	s_waitcnt lgkmcnt(0)
	v_max_f32_e64 v9, s20, s20
	v_max_f32_e32 v8, v8, v9
	v_sub_f32_e32 v9, v7, v8
	v_sub_f32_e32 v11, s20, v8
	v_mul_f32_e32 v12, 0x3fb8aa3b, v9
	v_mul_f32_e32 v13, 0x3fb8aa3b, v11
	v_fma_f32 v14, v9, s2, -v12
	v_rndne_f32_e32 v15, v12
	v_fma_f32 v16, v11, s2, -v13
	v_rndne_f32_e32 v17, v13
	v_fmac_f32_e32 v14, 0x32a5705f, v9
	v_sub_f32_e32 v12, v12, v15
	v_fmac_f32_e32 v16, 0x32a5705f, v11
	v_sub_f32_e32 v13, v13, v17
	v_add_f32_e32 v12, v12, v14
	v_cvt_i32_f32_e32 v15, v15
	v_add_f32_e32 v13, v13, v16
	v_exp_f32_e32 v12, v12
	v_cvt_i32_f32_e32 v17, v17
	v_exp_f32_e32 v13, v13
	v_cmp_ngt_f32_e32 vcc, s6, v9
	v_ldexp_f32 v12, v12, v15
	v_cndmask_b32_e32 v12, 0, v12, vcc
	v_ldexp_f32 v13, v13, v17
	v_cmp_ngt_f32_e32 vcc, s6, v11
	v_cndmask_b32_e32 v13, 0, v13, vcc
	v_cmp_nlt_f32_e32 vcc, s23, v9
	v_cndmask_b32_e32 v12, v5, v12, vcc
	v_cmp_nlt_f32_e32 vcc, s23, v11
	v_cndmask_b32_e32 v13, v5, v13, vcc
	v_cmp_le_f32_e32 vcc, s24, v9
	v_cndmask_b32_e32 v12, 0, v12, vcc
	v_cmp_le_f32_e32 vcc, s24, v11
	v_cndmask_b32_e32 v11, 0, v13, vcc
	v_mul_f32_e32 v9, s21, v11
	v_fmac_f32_e32 v9, v6, v12
	s_waitcnt vmcnt(0)
	v_mul_f32_e32 v10, v10, v11
	v_fmac_f32_e32 v10, v3, v12
	s_cbranch_execnz .LBB22_13
.LBB22_17:
	s_add_i32 s5, s25, -1
	s_mov_b32 s17, s10
	v_mov_b32_e32 v9, v6
	v_mov_b32_e32 v8, v7
	s_waitcnt vmcnt(0)
	v_mov_b32_e32 v10, v3
	s_cbranch_execz .LBB22_22
.LBB22_18:
	s_mov_b32 s10, s17
	s_mov_b32 s25, s5
	v_mov_b32_e32 v6, v9
	v_mov_b32_e32 v7, v8
	s_waitcnt vmcnt(0)
	v_mov_b32_e32 v3, v10
	s_mul_hi_i32 s5, s25, s3
	s_cmp_lg_u64 s[4:5], 0
	s_mul_i32 s20, s25, s3
	s_cbranch_scc1 .LBB22_9
.LBB22_19:
                                        ; implicit-def: $sgpr16_sgpr17
	s_branch .LBB22_10
.LBB22_20:
                                        ; implicit-def: $sgpr10_sgpr11
	s_load_dwordx4 s[12:15], s[4:5], 0x44
	s_branch .LBB22_2
.LBB22_21:
                                        ; implicit-def: $sgpr18_sgpr19
	s_branch .LBB22_5
.LBB22_22:
	v_div_scale_f32 v0, s[0:1], v9, v9, v10
	s_waitcnt vmcnt(0)
	v_div_scale_f32 v3, vcc, v10, v9, v10
	v_rcp_f32_e32 v4, v0
	v_fma_f32 v5, -v0, v4, 1.0
	v_fmac_f32_e32 v4, v5, v4
	v_mul_f32_e32 v5, v3, v4
	v_fma_f32 v6, -v0, v5, v3
	v_fmac_f32_e32 v5, v6, v4
	v_fma_f32 v0, -v0, v5, v3
	v_div_fmas_f32 v0, v0, v4, v5
	v_div_fixup_f32 v0, v0, v9, v10
	global_store_dword v[1:2], v0, off
.LBB22_23:
	s_endpgm
	.section	.rodata,"a",@progbits
	.p2align	6, 0x0
	.amdhsa_kernel _ZL33flash_attn_stream_k_fixup_generalILi512ELi1ELi4EEvPfPK15HIP_vector_typeIfLj2EEiiiiS1_IjLj3EES5_S5_S5_
		.amdhsa_group_segment_fixed_size 0
		.amdhsa_private_segment_fixed_size 0
		.amdhsa_kernarg_size 336
		.amdhsa_user_sgpr_count 6
		.amdhsa_user_sgpr_private_segment_buffer 1
		.amdhsa_user_sgpr_dispatch_ptr 0
		.amdhsa_user_sgpr_queue_ptr 0
		.amdhsa_user_sgpr_kernarg_segment_ptr 1
		.amdhsa_user_sgpr_dispatch_id 0
		.amdhsa_user_sgpr_flat_scratch_init 0
		.amdhsa_user_sgpr_private_segment_size 0
		.amdhsa_uses_dynamic_stack 0
		.amdhsa_system_sgpr_private_segment_wavefront_offset 0
		.amdhsa_system_sgpr_workgroup_id_x 1
		.amdhsa_system_sgpr_workgroup_id_y 1
		.amdhsa_system_sgpr_workgroup_id_z 1
		.amdhsa_system_sgpr_workgroup_info 0
		.amdhsa_system_vgpr_workitem_id 0
		.amdhsa_next_free_vgpr 18
		.amdhsa_next_free_sgpr 37
		.amdhsa_reserve_vcc 1
		.amdhsa_reserve_flat_scratch 0
		.amdhsa_float_round_mode_32 0
		.amdhsa_float_round_mode_16_64 0
		.amdhsa_float_denorm_mode_32 3
		.amdhsa_float_denorm_mode_16_64 3
		.amdhsa_dx10_clamp 1
		.amdhsa_ieee_mode 1
		.amdhsa_fp16_overflow 0
		.amdhsa_exception_fp_ieee_invalid_op 0
		.amdhsa_exception_fp_denorm_src 0
		.amdhsa_exception_fp_ieee_div_zero 0
		.amdhsa_exception_fp_ieee_overflow 0
		.amdhsa_exception_fp_ieee_underflow 0
		.amdhsa_exception_fp_ieee_inexact 0
		.amdhsa_exception_int_div_zero 0
	.end_amdhsa_kernel
	.section	.text._ZL33flash_attn_stream_k_fixup_generalILi512ELi1ELi4EEvPfPK15HIP_vector_typeIfLj2EEiiiiS1_IjLj3EES5_S5_S5_,"axG",@progbits,_ZL33flash_attn_stream_k_fixup_generalILi512ELi1ELi4EEvPfPK15HIP_vector_typeIfLj2EEiiiiS1_IjLj3EES5_S5_S5_,comdat
.Lfunc_end22:
	.size	_ZL33flash_attn_stream_k_fixup_generalILi512ELi1ELi4EEvPfPK15HIP_vector_typeIfLj2EEiiiiS1_IjLj3EES5_S5_S5_, .Lfunc_end22-_ZL33flash_attn_stream_k_fixup_generalILi512ELi1ELi4EEvPfPK15HIP_vector_typeIfLj2EEiiiiS1_IjLj3EES5_S5_S5_
                                        ; -- End function
	.set _ZL33flash_attn_stream_k_fixup_generalILi512ELi1ELi4EEvPfPK15HIP_vector_typeIfLj2EEiiiiS1_IjLj3EES5_S5_S5_.num_vgpr, 18
	.set _ZL33flash_attn_stream_k_fixup_generalILi512ELi1ELi4EEvPfPK15HIP_vector_typeIfLj2EEiiiiS1_IjLj3EES5_S5_S5_.num_agpr, 0
	.set _ZL33flash_attn_stream_k_fixup_generalILi512ELi1ELi4EEvPfPK15HIP_vector_typeIfLj2EEiiiiS1_IjLj3EES5_S5_S5_.numbered_sgpr, 37
	.set _ZL33flash_attn_stream_k_fixup_generalILi512ELi1ELi4EEvPfPK15HIP_vector_typeIfLj2EEiiiiS1_IjLj3EES5_S5_S5_.num_named_barrier, 0
	.set _ZL33flash_attn_stream_k_fixup_generalILi512ELi1ELi4EEvPfPK15HIP_vector_typeIfLj2EEiiiiS1_IjLj3EES5_S5_S5_.private_seg_size, 0
	.set _ZL33flash_attn_stream_k_fixup_generalILi512ELi1ELi4EEvPfPK15HIP_vector_typeIfLj2EEiiiiS1_IjLj3EES5_S5_S5_.uses_vcc, 1
	.set _ZL33flash_attn_stream_k_fixup_generalILi512ELi1ELi4EEvPfPK15HIP_vector_typeIfLj2EEiiiiS1_IjLj3EES5_S5_S5_.uses_flat_scratch, 0
	.set _ZL33flash_attn_stream_k_fixup_generalILi512ELi1ELi4EEvPfPK15HIP_vector_typeIfLj2EEiiiiS1_IjLj3EES5_S5_S5_.has_dyn_sized_stack, 0
	.set _ZL33flash_attn_stream_k_fixup_generalILi512ELi1ELi4EEvPfPK15HIP_vector_typeIfLj2EEiiiiS1_IjLj3EES5_S5_S5_.has_recursion, 0
	.set _ZL33flash_attn_stream_k_fixup_generalILi512ELi1ELi4EEvPfPK15HIP_vector_typeIfLj2EEiiiiS1_IjLj3EES5_S5_S5_.has_indirect_call, 0
	.section	.AMDGPU.csdata,"",@progbits
; Kernel info:
; codeLenInByte = 2920
; TotalNumSgprs: 41
; NumVgprs: 18
; ScratchSize: 0
; MemoryBound: 0
; FloatMode: 240
; IeeeMode: 1
; LDSByteSize: 0 bytes/workgroup (compile time only)
; SGPRBlocks: 5
; VGPRBlocks: 4
; NumSGPRsForWavesPerEU: 41
; NumVGPRsForWavesPerEU: 18
; Occupancy: 10
; WaveLimiterHint : 0
; COMPUTE_PGM_RSRC2:SCRATCH_EN: 0
; COMPUTE_PGM_RSRC2:USER_SGPR: 6
; COMPUTE_PGM_RSRC2:TRAP_HANDLER: 0
; COMPUTE_PGM_RSRC2:TGID_X_EN: 1
; COMPUTE_PGM_RSRC2:TGID_Y_EN: 1
; COMPUTE_PGM_RSRC2:TGID_Z_EN: 1
; COMPUTE_PGM_RSRC2:TIDIG_COMP_CNT: 0
	.section	.text._ZL15flash_attn_tileILi576ELi512ELi2ELi16ELb1EEvPKcS1_S1_S1_S1_PKiPfP15HIP_vector_typeIfLj2EEffffjfiS5_IjLj3EEiiiiiiiiiiiliiliiiiil,"axG",@progbits,_ZL15flash_attn_tileILi576ELi512ELi2ELi16ELb1EEvPKcS1_S1_S1_S1_PKiPfP15HIP_vector_typeIfLj2EEffffjfiS5_IjLj3EEiiiiiiiiiiiliiliiiiil,comdat
	.globl	_ZL15flash_attn_tileILi576ELi512ELi2ELi16ELb1EEvPKcS1_S1_S1_S1_PKiPfP15HIP_vector_typeIfLj2EEffffjfiS5_IjLj3EEiiiiiiiiiiiliiliiiiil ; -- Begin function _ZL15flash_attn_tileILi576ELi512ELi2ELi16ELb1EEvPKcS1_S1_S1_S1_PKiPfP15HIP_vector_typeIfLj2EEffffjfiS5_IjLj3EEiiiiiiiiiiiliiliiiiil
	.p2align	8
	.type	_ZL15flash_attn_tileILi576ELi512ELi2ELi16ELb1EEvPKcS1_S1_S1_S1_PKiPfP15HIP_vector_typeIfLj2EEffffjfiS5_IjLj3EEiiiiiiiiiiiliiliiiiil,@function
_ZL15flash_attn_tileILi576ELi512ELi2ELi16ELb1EEvPKcS1_S1_S1_S1_PKiPfP15HIP_vector_typeIfLj2EEffffjfiS5_IjLj3EEiiiiiiiiiiiliiliiiiil: ; @_ZL15flash_attn_tileILi576ELi512ELi2ELi16ELb1EEvPKcS1_S1_S1_S1_PKiPfP15HIP_vector_typeIfLj2EEffffjfiS5_IjLj3EEiiiiiiiiiiiliiliiiiil
; %bb.0:
	s_load_dwordx4 s[0:3], s[4:5], 0x5c
	s_load_dwordx2 s[28:29], s[4:5], 0x80
	s_load_dwordx2 s[34:35], s[4:5], 0xb8
	s_mov_b64 s[30:31], 0
	s_waitcnt lgkmcnt(0)
	s_ashr_i32 s9, s3, 31
	s_lshr_b32 s9, s9, 28
	s_add_i32 s9, s3, s9
	s_ashr_i32 s9, s9, 4
	v_cvt_f32_u32_e32 v2, s9
	s_sub_i32 s10, 0, s9
	v_rcp_iflag_f32_e32 v2, v2
	v_mul_f32_e32 v2, 0x4f7ffffe, v2
	v_cvt_u32_f32_e32 v2, v2
	v_readfirstlane_b32 s11, v2
	s_mul_i32 s10, s10, s11
	s_mul_hi_u32 s10, s11, s10
	s_add_i32 s11, s11, s10
	s_mul_hi_u32 s10, s8, s11
	s_mul_i32 s11, s10, s9
	s_sub_i32 s11, s8, s11
	s_add_i32 s12, s10, 1
	s_sub_i32 s13, s11, s9
	s_cmp_ge_u32 s11, s9
	s_cselect_b32 s10, s12, s10
	s_cselect_b32 s11, s13, s11
	s_add_i32 s12, s10, 1
	s_cmp_ge_u32 s11, s9
	s_cselect_b32 s33, s12, s10
	s_abs_i32 s9, s29
	v_cvt_f32_u32_e32 v2, s9
	s_lshl_b32 s8, s8, 4
	s_mul_i32 s12, s33, s3
	s_xor_b32 s10, s3, s29
	v_rcp_iflag_f32_e32 v2, v2
	s_sub_i32 s13, 0, s9
	s_sub_i32 s29, s8, s12
	s_abs_i32 s11, s3
	v_mul_f32_e32 v2, 0x4f7ffffe, v2
	v_cvt_u32_f32_e32 v2, v2
	s_ashr_i32 s10, s10, 31
	v_readfirstlane_b32 s8, v2
	s_mul_i32 s13, s13, s8
	s_mul_hi_u32 s12, s8, s13
	s_add_i32 s8, s8, s12
	s_mul_hi_u32 s8, s11, s8
	s_mul_i32 s12, s8, s9
	s_sub_i32 s11, s11, s12
	s_add_i32 s13, s8, 1
	s_sub_i32 s12, s11, s9
	s_cmp_ge_u32 s11, s9
	s_cselect_b32 s8, s13, s8
	s_cselect_b32 s11, s12, s11
	s_add_i32 s12, s8, 1
	s_cmp_ge_u32 s11, s9
	s_cselect_b32 s8, s12, s8
	s_xor_b32 s8, s8, s10
	s_sub_i32 s37, s8, s10
	s_abs_i32 s36, s37
	v_cvt_f32_u32_e32 v2, s36
	s_load_dwordx16 s[8:23], s[4:5], 0x0
	v_rcp_iflag_f32_e32 v2, v2
	s_waitcnt lgkmcnt(0)
	s_cmp_eq_u64 s[14:15], 0
	v_mul_f32_e32 v2, 0x4f7ffffe, v2
	v_cvt_u32_f32_e32 v2, v2
	v_readfirstlane_b32 s24, v2
	s_cbranch_scc1 .LBB23_2
; %bb.1:
	s_abs_i32 s25, s34
	v_cvt_f32_u32_e32 v2, s25
	s_sub_i32 s34, 0, s25
	s_abs_i32 s31, s33
	s_ashr_i32 s30, s33, 31
	v_rcp_iflag_f32_e32 v2, v2
	s_load_dwordx2 s[26:27], s[4:5], 0xc8
	v_mul_f32_e32 v2, 0x4f7ffffe, v2
	v_cvt_u32_f32_e32 v2, v2
	v_readfirstlane_b32 s38, v2
	s_mul_i32 s34, s34, s38
	s_mul_hi_u32 s34, s38, s34
	s_add_i32 s38, s38, s34
	s_mul_hi_u32 s34, s31, s38
	s_mul_i32 s34, s34, s25
	s_sub_i32 s31, s31, s34
	s_sub_i32 s34, s31, s25
	s_cmp_ge_u32 s31, s25
	s_cselect_b32 s31, s34, s31
	s_sub_i32 s34, s31, s25
	s_cmp_ge_u32 s31, s25
	s_cselect_b32 s25, s34, s31
	s_xor_b32 s25, s25, s30
	s_sub_i32 s25, s25, s30
	s_ashr_i32 s30, s25, 31
	s_waitcnt lgkmcnt(0)
	s_mul_hi_u32 s31, s26, s25
	s_mul_i32 s30, s26, s30
	s_mul_i32 s27, s27, s25
	s_add_i32 s30, s31, s30
	s_add_i32 s27, s30, s27
	s_mul_i32 s25, s26, s25
	s_add_u32 s30, s14, s25
	s_addc_u32 s31, s15, s27
.LBB23_2:
	v_lshrrev_b32_e32 v2, 3, v1
	s_load_dwordx4 s[40:43], s[4:5], 0x70
	v_lshl_add_u32 v16, s6, 1, v2
	v_mul_hi_u32 v2, s0, v16
	v_lshlrev_b32_e32 v5, 1, v1
	v_and_b32_e32 v17, 14, v5
	s_waitcnt lgkmcnt(0)
	s_mul_i32 s0, s33, s42
	v_add_u32_e32 v2, v16, v2
	s_ashr_i32 s15, s0, 31
	v_lshrrev_b32_e32 v2, s1, v2
	s_mul_i32 s14, s29, s41
	s_add_u32 s0, s8, s0
	v_mul_lo_u32 v2, v2, s2
	s_addc_u32 s8, s9, s15
	s_ashr_i32 s9, s14, 31
	s_add_u32 s25, s0, s14
	s_addc_u32 s14, s8, s9
	s_ashr_i32 s9, s41, 31
	s_mov_b32 s8, s41
	s_ashr_i32 s41, s40, 31
	v_sub_u32_e32 v4, v16, v2
	s_lshr_b64 s[0:1], s[40:41], 2
	v_mad_u64_u32 v[2:3], s[0:1], s0, v4, 0
	s_lshr_b32 s0, s41, 2
	v_lshlrev_b32_e32 v8, 4, v0
	v_mad_u64_u32 v[6:7], s[0:1], s0, v4, v[3:4]
	s_lshr_b64 s[0:1], s[8:9], 2
	s_lshr_b32 s8, s9, 2
	v_mov_b32_e32 v3, v6
	v_mov_b32_e32 v6, s14
	v_mad_u64_u32 v[9:10], s[14:15], s0, v17, 0
	v_lshlrev_b64 v[2:3], 2, v[2:3]
	s_load_dword s14, s[4:5], 0x40
	v_add_co_u32_e32 v7, vcc, s25, v2
	v_mov_b32_e32 v2, v10
	v_addc_co_u32_e32 v6, vcc, v6, v3, vcc
	v_mad_u64_u32 v[2:3], s[8:9], s8, v17, v[2:3]
	v_add_co_u32_e32 v7, vcc, v7, v8
	v_mov_b32_e32 v10, v2
	v_lshlrev_b64 v[2:3], 2, v[9:10]
	v_addc_co_u32_e32 v8, vcc, 0, v6, vcc
	v_add_co_u32_e32 v2, vcc, v7, v2
	v_addc_co_u32_e32 v3, vcc, v8, v3, vcc
	global_load_dwordx4 v[9:12], v[2:3], off
	global_load_dwordx4 v[20:23], v[2:3], off offset:512
	global_load_dwordx4 v[24:27], v[2:3], off offset:1024
	;; [unrolled: 1-line block ×3, first 2 shown]
	v_lshlrev_b32_e32 v6, 3, v0
	s_movk_i32 s8, 0x900
	v_mul_u32_u24_e32 v19, 0x900, v1
	v_mad_u32_u24 v15, v1, s8, v6
	v_cmp_gt_u32_e32 vcc, 16, v0
	s_waitcnt vmcnt(3) lgkmcnt(0)
	v_fma_mixlo_f16 v9, s14, v9, 0
	v_fma_mixlo_f16 v10, s14, v10, 0
	;; [unrolled: 1-line block ×4, first 2 shown]
	s_waitcnt vmcnt(2)
	v_fma_mixlo_f16 v13, s14, v20, 0
	v_fma_mixlo_f16 v14, s14, v21, 0
	v_fma_mixlo_f16 v18, s14, v22, 0
	v_fma_mixlo_f16 v20, s14, v23, 0
	s_waitcnt vmcnt(1)
	v_fma_mixlo_f16 v21, s14, v24, 0
	v_fma_mixlo_f16 v22, s14, v25, 0
	;; [unrolled: 1-line block ×3, first 2 shown]
	s_waitcnt vmcnt(0)
	v_fma_mixlo_f16 v25, s14, v28, 0
	v_fma_mixlo_f16 v26, s14, v29, 0
	v_lshlrev_b32_e32 v10, 16, v10
	v_and_b32_e32 v9, 0xffff, v9
	v_lshlrev_b32_e32 v12, 16, v12
	v_and_b32_e32 v11, 0xffff, v11
	;; [unrolled: 2-line block ×3, first 2 shown]
	v_fma_mixlo_f16 v24, s14, v27, 0
	v_fma_mixlo_f16 v27, s14, v30, 0
	;; [unrolled: 1-line block ×3, first 2 shown]
	v_lshlrev_b32_e32 v20, 16, v20
	v_and_b32_e32 v18, 0xffff, v18
	v_lshlrev_b32_e32 v22, 16, v22
	v_and_b32_e32 v21, 0xffff, v21
	;; [unrolled: 2-line block ×3, first 2 shown]
	v_or_b32_e32 v9, v10, v9
	v_or3_b32 v10, v12, v11, 0
	v_or_b32_e32 v11, v14, v13
	v_lshlrev_b32_e32 v24, 16, v24
	v_and_b32_e32 v23, 0xffff, v23
	v_lshlrev_b32_e32 v28, 16, v28
	v_and_b32_e32 v27, 0xffff, v27
	v_or3_b32 v12, v20, v18, 0
	v_or_b32_e32 v13, v22, v21
	v_or_b32_e32 v18, v26, v25
	v_or3_b32 v9, 0, 0, v9
	v_or3_b32 v11, 0, 0, v11
	;; [unrolled: 1-line block ×6, first 2 shown]
	ds_write2_b64 v15, v[9:10], v[11:12] offset1:32
	ds_write2_b64 v15, v[13:14], v[20:21] offset0:64 offset1:96
	s_and_saveexec_b64 s[8:9], vcc
	s_cbranch_execz .LBB23_4
; %bb.3:
	global_load_dwordx4 v[9:12], v[2:3], off offset:2048
	s_waitcnt vmcnt(0)
	v_fma_mixlo_f16 v2, s14, v9, 0
	v_fma_mixlo_f16 v3, s14, v10, 0
	;; [unrolled: 1-line block ×4, first 2 shown]
	v_lshlrev_b32_e32 v3, 16, v3
	v_and_b32_e32 v2, 0xffff, v2
	v_lshlrev_b32_e32 v10, 16, v10
	v_and_b32_e32 v9, 0xffff, v9
	v_or_b32_e32 v2, v3, v2
	v_or3_b32 v3, v10, v9, 0
	v_or3_b32 v2, 0, 0, v2
	v_add_u32_e32 v9, v6, v19
	ds_write_b64 v9, v[2:3] offset:1024
.LBB23_4:
	s_or_b64 exec, exec, s[8:9]
	v_or_b32_e32 v5, 1, v5
	v_and_b32_e32 v9, 15, v5
	v_mad_u64_u32 v[2:3], s[8:9], s0, v9, 0
	v_mad_u64_u32 v[9:10], s[0:1], s1, v9, v[3:4]
	v_mov_b32_e32 v3, v9
	v_lshlrev_b64 v[2:3], 2, v[2:3]
	v_add_co_u32_e64 v2, s[0:1], v7, v2
	v_addc_co_u32_e64 v3, s[0:1], v8, v3, s[0:1]
	global_load_dwordx4 v[7:10], v[2:3], off
	global_load_dwordx4 v[11:14], v[2:3], off offset:512
	global_load_dwordx4 v[20:23], v[2:3], off offset:1024
	;; [unrolled: 1-line block ×3, first 2 shown]
	s_movk_i32 s0, 0x480
	v_mad_u32_u24 v15, v5, s0, v6
	s_waitcnt vmcnt(3)
	v_fma_mixlo_f16 v7, s14, v7, 0
	v_fma_mixlo_f16 v8, s14, v8, 0
	v_fma_mixlo_f16 v9, s14, v9, 0
	v_fma_mixlo_f16 v10, s14, v10, 0
	s_waitcnt vmcnt(2)
	v_fma_mixlo_f16 v11, s14, v11, 0
	v_fma_mixlo_f16 v12, s14, v12, 0
	v_fma_mixlo_f16 v13, s14, v13, 0
	v_fma_mixlo_f16 v14, s14, v14, 0
	;; [unrolled: 5-line block ×3, first 2 shown]
	s_waitcnt vmcnt(0)
	v_fma_mixlo_f16 v23, s14, v24, 0
	v_fma_mixlo_f16 v24, s14, v25, 0
	v_lshlrev_b32_e32 v8, 16, v8
	v_and_b32_e32 v7, 0xffff, v7
	v_lshlrev_b32_e32 v10, 16, v10
	v_and_b32_e32 v9, 0xffff, v9
	;; [unrolled: 2-line block ×3, first 2 shown]
	v_fma_mixlo_f16 v25, s14, v26, 0
	v_fma_mixlo_f16 v26, s14, v27, 0
	v_lshlrev_b32_e32 v14, 16, v14
	v_and_b32_e32 v13, 0xffff, v13
	v_lshlrev_b32_e32 v20, 16, v20
	v_and_b32_e32 v18, 0xffff, v18
	v_lshlrev_b32_e32 v24, 16, v24
	v_and_b32_e32 v23, 0xffff, v23
	v_or_b32_e32 v7, v8, v7
	v_or3_b32 v8, v10, v9, 0
	v_or_b32_e32 v9, v12, v11
	v_lshlrev_b32_e32 v22, 16, v22
	v_and_b32_e32 v21, 0xffff, v21
	v_lshlrev_b32_e32 v26, 16, v26
	v_and_b32_e32 v25, 0xffff, v25
	v_or3_b32 v10, v14, v13, 0
	v_or_b32_e32 v11, v20, v18
	v_or_b32_e32 v13, v24, v23
	v_or3_b32 v7, 0, 0, v7
	v_or3_b32 v9, 0, 0, v9
	;; [unrolled: 1-line block ×6, first 2 shown]
	ds_write2_b64 v15, v[7:8], v[9:10] offset1:32
	ds_write2_b64 v15, v[11:12], v[13:14] offset0:64 offset1:96
	s_and_saveexec_b64 s[0:1], vcc
	s_cbranch_execz .LBB23_6
; %bb.5:
	global_load_dwordx4 v[7:10], v[2:3], off offset:2048
	v_mul_u32_u24_e32 v5, 0x480, v5
	v_add_u32_e32 v5, v6, v5
	s_waitcnt vmcnt(0)
	v_fma_mixlo_f16 v2, s14, v7, 0
	v_fma_mixlo_f16 v3, s14, v8, 0
	;; [unrolled: 1-line block ×4, first 2 shown]
	v_lshlrev_b32_e32 v3, 16, v3
	v_and_b32_e32 v2, 0xffff, v2
	v_lshlrev_b32_e32 v8, 16, v8
	v_and_b32_e32 v7, 0xffff, v7
	v_or_b32_e32 v2, v3, v2
	v_or3_b32 v3, v8, v7, 0
	v_or3_b32 v2, 0, 0, v2
	ds_write_b64 v5, v[2:3] offset:1024
.LBB23_6:
	s_or_b64 exec, exec, s[0:1]
	s_cmp_eq_u64 s[18:19], 0
	s_waitcnt lgkmcnt(0)
	s_barrier
	s_cbranch_scc1 .LBB23_8
; %bb.7:
	s_load_dword s0, s[4:5], 0xd0
	s_mov_b32 s1, 0
	s_waitcnt lgkmcnt(0)
	s_mul_i32 s0, s0, s33
	s_add_i32 s0, s0, s6
	s_lshl_b64 s[0:1], s[0:1], 2
	s_add_u32 s0, s18, s0
	s_addc_u32 s1, s19, s1
	s_load_dword s28, s[0:1], 0x0
.LBB23_8:
	s_lshl_b32 s6, s7, 7
	v_lshlrev_b32_e32 v18, 2, v0
	s_waitcnt lgkmcnt(0)
	s_cmp_lt_i32 s6, s28
	v_mbcnt_lo_u32_b32 v2, -1, 0
	s_cbranch_scc1 .LBB23_14
; %bb.9:
	v_mbcnt_hi_u32_b32 v20, -1, v2
	v_and_b32_e32 v3, 0x60, v20
	v_add_u32_e32 v53, 32, v3
	v_xor_b32_e32 v58, 16, v20
	v_xor_b32_e32 v54, 8, v20
	;; [unrolled: 1-line block ×5, first 2 shown]
	s_cbranch_execz .LBB23_15
; %bb.10:
	v_mov_b32_e32 v39, 0
	v_mov_b32_e32 v52, 0
	;; [unrolled: 1-line block ×20, first 2 shown]
.LBB23_11:
	v_cmp_lt_i32_e32 vcc, v58, v53
	v_cndmask_b32_e32 v1, v20, v58, vcc
	v_lshlrev_b32_e32 v1, 2, v1
	ds_bpermute_b32 v2, v1, v51
	ds_bpermute_b32 v1, v1, v52
	v_cmp_lt_i32_e32 vcc, v54, v53
	v_cndmask_b32_e32 v3, v20, v54, vcc
	v_lshlrev_b32_e32 v3, 2, v3
	s_waitcnt lgkmcnt(1)
	v_add_f32_e32 v2, v51, v2
	s_waitcnt lgkmcnt(0)
	v_add_f32_e32 v1, v52, v1
	ds_bpermute_b32 v4, v3, v2
	ds_bpermute_b32 v3, v3, v1
	v_cmp_lt_i32_e32 vcc, v55, v53
	v_cndmask_b32_e32 v9, v20, v55, vcc
	v_lshlrev_b32_e32 v9, 2, v9
	s_waitcnt lgkmcnt(1)
	v_add_f32_e32 v2, v2, v4
	s_waitcnt lgkmcnt(0)
	v_add_f32_e32 v1, v1, v3
	;; [unrolled: 9-line block ×4, first 2 shown]
	ds_bpermute_b32 v4, v9, v2
	ds_bpermute_b32 v9, v9, v3
	s_cmp_lg_u64 s[16:17], 0
	s_cselect_b64 s[0:1], -1, 0
	s_cmp_eq_u32 s7, 0
	s_cselect_b64 s[8:9], -1, 0
	s_and_b64 s[0:1], s[8:9], s[0:1]
	s_waitcnt lgkmcnt(1)
	v_add_f32_e32 v1, v2, v4
	s_waitcnt lgkmcnt(0)
	v_add_f32_e32 v2, v3, v9
	s_and_b64 vcc, exec, s[0:1]
	s_cbranch_vccz .LBB23_50
; %bb.12:
	v_add_u32_e32 v3, s29, v17
	v_ashrrev_i32_e32 v4, 31, v3
	v_lshlrev_b64 v[3:4], 2, v[3:4]
	v_mov_b32_e32 v9, s17
	v_add_co_u32_e32 v3, vcc, s16, v3
	v_addc_co_u32_e32 v4, vcc, v9, v4, vcc
	global_load_dwordx2 v[3:4], v[3:4], off
	v_max_f32_e32 v9, v14, v14
	v_max_f32_e32 v10, v15, v15
	s_mov_b32 s0, 0x3fb8aa3b
	s_mov_b32 s1, 0xc2ce8ed0
	;; [unrolled: 1-line block ×3, first 2 shown]
	v_mov_b32_e32 v11, 0x7f800000
	s_waitcnt vmcnt(0)
	v_max_f32_e32 v12, v3, v3
	v_max_f32_e32 v13, v4, v4
	;; [unrolled: 1-line block ×4, first 2 shown]
	v_sub_f32_e32 v12, v14, v9
	v_sub_f32_e32 v13, v15, v10
	v_mov_b32_e32 v15, v10
	v_sub_f32_e32 v3, v3, v9
	v_mov_b32_e32 v14, v9
	v_mul_f32_e32 v9, 0x3fb8aa3b, v12
	v_sub_f32_e32 v4, v4, v10
	v_mul_f32_e32 v10, 0x3fb8aa3b, v3
	v_fma_f32 v21, v12, s0, -v9
	v_rndne_f32_e32 v22, v9
	v_mul_f32_e32 v19, 0x3fb8aa3b, v13
	v_fma_f32 v23, v3, s0, -v10
	v_rndne_f32_e32 v24, v10
	v_fmac_f32_e32 v21, 0x32a5705f, v12
	v_sub_f32_e32 v9, v9, v22
	v_mul_f32_e32 v20, 0x3fb8aa3b, v4
	v_fma_f32 v25, v13, s0, -v19
	v_rndne_f32_e32 v26, v19
	v_fmac_f32_e32 v23, 0x32a5705f, v3
	v_sub_f32_e32 v10, v10, v24
	v_add_f32_e32 v9, v9, v21
	v_fma_f32 v27, v4, s0, -v20
	v_rndne_f32_e32 v28, v20
	v_cvt_i32_f32_e32 v22, v22
	v_fmac_f32_e32 v25, 0x32a5705f, v13
	v_sub_f32_e32 v19, v19, v26
	v_add_f32_e32 v10, v10, v23
	v_exp_f32_e32 v9, v9
	v_cvt_i32_f32_e32 v24, v24
	v_fmac_f32_e32 v27, 0x32a5705f, v4
	v_sub_f32_e32 v20, v20, v28
	v_add_f32_e32 v19, v19, v25
	v_exp_f32_e32 v10, v10
	v_cvt_i32_f32_e32 v26, v26
	v_add_f32_e32 v20, v20, v27
	v_exp_f32_e32 v19, v19
	v_cvt_i32_f32_e32 v28, v28
	v_exp_f32_e32 v20, v20
	v_ldexp_f32 v9, v9, v22
	v_cmp_ngt_f32_e32 vcc, s1, v12
	v_ldexp_f32 v10, v10, v24
	v_cndmask_b32_e32 v9, 0, v9, vcc
	v_cmp_ngt_f32_e32 vcc, s1, v3
	v_ldexp_f32 v19, v19, v26
	v_cndmask_b32_e32 v10, 0, v10, vcc
	;; [unrolled: 3-line block ×3, first 2 shown]
	v_cmp_ngt_f32_e32 vcc, s1, v4
	v_cndmask_b32_e32 v20, 0, v20, vcc
	v_cmp_nlt_f32_e32 vcc, s6, v12
	v_cndmask_b32_e32 v9, v11, v9, vcc
	v_cmp_nlt_f32_e32 vcc, s6, v3
	;; [unrolled: 2-line block ×4, first 2 shown]
	v_cndmask_b32_e32 v4, v11, v20, vcc
	v_fmac_f32_e32 v3, v1, v9
	v_cvt_f16_f32_e32 v9, v9
	v_cvt_f16_f32_e32 v11, v10
	v_fmac_f32_e32 v4, v2, v10
	v_mov_b32_e32 v1, v3
	v_mul_u32_u24_e32 v2, 0x10001, v9
	v_mul_u32_u24_e32 v9, 0x10001, v11
	v_pk_mul_f16 v39, v39, v2
	v_pk_mul_f16 v46, v46, v2
	v_pk_mul_f16 v44, v44, v2
	v_pk_mul_f16 v45, v45, v2
	v_pk_mul_f16 v42, v42, v2
	v_pk_mul_f16 v43, v43, v2
	v_pk_mul_f16 v40, v40, v2
	v_pk_mul_f16 v41, v41, v2
	v_pk_mul_f16 v35, v35, v9
	v_pk_mul_f16 v38, v38, v9
	v_pk_mul_f16 v36, v36, v9
	v_pk_mul_f16 v37, v37, v9
	v_pk_mul_f16 v7, v7, v9
	v_pk_mul_f16 v8, v8, v9
	v_pk_mul_f16 v6, v6, v9
	v_pk_mul_f16 v5, v5, v9
	v_mov_b32_e32 v2, v4
	v_cmp_gt_i32_e32 vcc, s2, v16
	s_and_saveexec_b64 s[0:1], vcc
	s_cbranch_execnz .LBB23_51
.LBB23_13:
	s_endpgm
.LBB23_14:
                                        ; implicit-def: $vgpr20
                                        ; implicit-def: $vgpr53
                                        ; implicit-def: $vgpr58
                                        ; implicit-def: $vgpr54
                                        ; implicit-def: $vgpr55
                                        ; implicit-def: $vgpr56
                                        ; implicit-def: $vgpr57
.LBB23_15:
	s_sub_i32 s0, 0, s36
	s_mul_i32 s0, s0, s24
	s_mul_hi_u32 s0, s24, s0
	s_abs_i32 s19, s29
	s_add_i32 s24, s24, s0
	s_mul_hi_u32 s34, s19, s24
	s_load_dwordx4 s[24:27], s[4:5], 0x98
	s_load_dword s14, s[4:5], 0x54
	s_load_dwordx2 s[0:1], s[4:5], 0x8c
	s_ashr_i32 s38, s29, 31
	s_ashr_i32 s37, s37, 31
	s_waitcnt lgkmcnt(0)
	s_ashr_i32 s15, s26, 2
	s_ashr_i32 s26, s35, 1
	s_ashr_i32 s18, s0, 2
	s_ashr_i32 s0, s33, 31
	s_mul_hi_u32 s35, s24, s33
	s_mul_i32 s39, s24, s0
	s_add_i32 s35, s35, s39
	s_mul_i32 s25, s25, s33
	s_add_i32 s35, s35, s25
	s_mul_i32 s24, s24, s33
	s_add_u32 s10, s10, s24
	s_mul_i32 s25, s34, s36
	s_addc_u32 s11, s11, s35
	s_sub_i32 s19, s19, s25
	s_xor_b32 s24, s38, s37
	s_add_i32 s25, s34, 1
	s_sub_i32 s35, s19, s36
	s_cmp_ge_u32 s19, s36
	s_cselect_b32 s25, s25, s34
	s_cselect_b32 s19, s35, s19
	s_add_i32 s34, s25, 1
	s_cmp_ge_u32 s19, s36
	s_load_dwordx2 s[8:9], s[4:5], 0xa8
	s_cselect_b32 s19, s34, s25
	s_xor_b32 s19, s19, s24
	s_sub_i32 s19, s19, s24
	s_mul_i32 s1, s19, s1
	s_ashr_i32 s24, s1, 31
	s_add_u32 s10, s10, s1
	s_waitcnt lgkmcnt(0)
	s_mul_hi_u32 s1, s8, s33
	s_mul_i32 s0, s8, s0
	s_addc_u32 s11, s11, s24
	s_add_i32 s0, s1, s0
	s_mul_i32 s1, s9, s33
	s_add_i32 s0, s0, s1
	s_mul_i32 s1, s8, s33
	s_add_u32 s1, s12, s1
	s_mul_i32 s19, s19, s27
	s_addc_u32 s0, s13, s0
	s_ashr_i32 s8, s19, 31
	s_add_u32 s9, s1, s19
	v_lshrrev_b32_e32 v3, 3, v0
	v_and_b32_e32 v14, 28, v18
	s_addc_u32 s8, s0, s8
	v_lshl_add_u32 v3, v1, 2, v3
	v_lshlrev_b32_e32 v8, 2, v14
	s_movk_i32 s0, 0x90
	v_mul_lo_u32 v7, s18, v3
	v_mad_u32_u24 v3, v3, s0, v8
	v_add_u32_e32 v21, 0x9000, v3
	v_add_u32_e32 v22, 0xb400, v3
	v_mov_b32_e32 v3, 0x9000
	v_mad_u32_u24 v23, v0, s0, v3
	v_mov_b32_e32 v3, 0xd800
	v_lshl_add_u32 v24, v1, 9, v3
	v_mul_lo_u32 v3, s15, v1
	v_mad_u64_u32 v[9:10], s[0:1], v4, s26, v[0:1]
	v_lshl_add_u32 v12, s18, 6, v7
	v_ashrrev_i32_e32 v4, 31, v3
	v_lshlrev_b64 v[3:4], 2, v[3:4]
	v_mov_b32_e32 v11, s8
	v_add_co_u32_e32 v3, vcc, s9, v3
	v_ashrrev_i32_e32 v8, 31, v7
	v_ashrrev_i32_e32 v13, 31, v12
	v_lshlrev_b32_e32 v10, 2, v18
	v_addc_co_u32_e32 v4, vcc, v11, v4, vcc
	v_lshl_add_u32 v1, v1, 10, v10
	s_add_u32 s0, s4, 0xd0
	v_add_co_u32_e32 v28, vcc, v3, v10
	v_lshlrev_b64 v[10:11], 2, v[7:8]
	v_lshlrev_b64 v[12:13], 2, v[12:13]
	v_mov_b32_e32 v5, 0
	v_add_u32_e32 v25, 0x9000, v1
	v_add_u32_e32 v26, 0x9200, v1
	v_or_b32_e32 v27, 0x9000, v6
	s_addc_u32 s1, s5, 0
	v_addc_co_u32_e32 v29, vcc, 0, v4, vcc
	v_mov_b32_e32 v50, 0xfeffffff
	v_lshlrev_b32_e32 v30, 2, v14
	s_mov_b32 s12, 0x3f200000
	s_mov_b32 s13, 0x3fb8aa3b
	;; [unrolled: 1-line block ×4, first 2 shown]
	v_mov_b32_e32 v31, 0xbd5c1c4e
	v_mov_b32_e32 v32, 0x3e088382
	;; [unrolled: 1-line block ×3, first 2 shown]
	s_brev_b32 s25, -2
	s_mov_b32 s26, 0x10001
	v_mov_b32_e32 v34, 0x7f800000
	v_mbcnt_hi_u32_b32 v20, -1, v2
	v_mov_b32_e32 v6, 0
	v_mov_b32_e32 v8, 0
	;; [unrolled: 1-line block ×18, first 2 shown]
.LBB23_16:                              ; =>This Inner Loop Header: Depth=1
	s_mul_hi_i32 s9, s6, s18
	s_mul_i32 s8, s6, s18
	s_lshl_b64 s[8:9], s[8:9], 2
	s_add_u32 s8, s10, s8
	s_addc_u32 s9, s11, s9
	v_mov_b32_e32 v1, s9
	v_add_co_u32_e32 v2, vcc, s8, v10
	v_addc_co_u32_e32 v3, vcc, v1, v11, vcc
	v_add_co_u32_e32 v1, vcc, v2, v30
	v_addc_co_u32_e32 v2, vcc, 0, v3, vcc
	v_mov_b32_e32 v3, s9
	v_add_co_u32_e32 v4, vcc, s8, v12
	v_addc_co_u32_e32 v14, vcc, v3, v13, vcc
	v_add_co_u32_e32 v3, vcc, v4, v30
	v_addc_co_u32_e32 v4, vcc, 0, v14, vcc
	global_load_dwordx4 v[57:60], v[1:2], off
	global_load_dwordx4 v[61:64], v[3:4], off
	v_mov_b32_e32 v53, 0
	v_mov_b32_e32 v14, 0
	;; [unrolled: 1-line block ×8, first 2 shown]
	s_waitcnt vmcnt(1)
	ds_write_b128 v21, v[57:60]
	s_waitcnt vmcnt(0)
	ds_write_b128 v22, v[61:64]
	s_waitcnt lgkmcnt(0)
	s_barrier
	ds_read_b128 v[57:60], v19
	ds_read_b128 v[61:64], v23
	ds_read_b128 v[65:68], v23 offset:4608
	ds_read_b128 v[69:72], v23 offset:9216
	ds_read_b128 v[73:76], v23 offset:13824
	ds_read_b128 v[77:80], v19 offset:1152
	s_waitcnt lgkmcnt(4)
	;;#ASMSTART
	v_dot2_f32_f16 v53, v61, v57, v53
	;;#ASMEND
	;;#ASMSTART
	v_dot2_f32_f16 v53, v62, v58, v53
	;;#ASMEND
	;; [unrolled: 3-line block ×4, first 2 shown]
	s_waitcnt lgkmcnt(0)
	;;#ASMSTART
	v_dot2_f32_f16 v14, v61, v77, v14
	;;#ASMEND
	;;#ASMSTART
	v_dot2_f32_f16 v14, v62, v78, v14
	;;#ASMEND
	;; [unrolled: 3-line block ×28, first 2 shown]
	ds_read_b128 v[57:60], v19 offset:16
	ds_read_b128 v[61:64], v23 offset:16
	;; [unrolled: 1-line block ×6, first 2 shown]
	s_waitcnt lgkmcnt(4)
	;;#ASMSTART
	v_dot2_f32_f16 v53, v61, v57, v53
	;;#ASMEND
	;;#ASMSTART
	v_dot2_f32_f16 v53, v62, v58, v53
	;;#ASMEND
	;; [unrolled: 3-line block ×4, first 2 shown]
	s_waitcnt lgkmcnt(0)
	;;#ASMSTART
	v_dot2_f32_f16 v14, v61, v77, v14
	;;#ASMEND
	;;#ASMSTART
	v_dot2_f32_f16 v14, v62, v78, v14
	;;#ASMEND
	;; [unrolled: 3-line block ×28, first 2 shown]
	ds_read_b128 v[57:60], v19 offset:32
	ds_read_b128 v[61:64], v23 offset:32
	;; [unrolled: 1-line block ×6, first 2 shown]
	s_waitcnt lgkmcnt(4)
	;;#ASMSTART
	v_dot2_f32_f16 v53, v61, v57, v53
	;;#ASMEND
	;;#ASMSTART
	v_dot2_f32_f16 v53, v62, v58, v53
	;;#ASMEND
	;; [unrolled: 3-line block ×4, first 2 shown]
	s_waitcnt lgkmcnt(0)
	;;#ASMSTART
	v_dot2_f32_f16 v14, v61, v77, v14
	;;#ASMEND
	;;#ASMSTART
	v_dot2_f32_f16 v14, v62, v78, v14
	;;#ASMEND
	;; [unrolled: 3-line block ×28, first 2 shown]
	ds_read_b128 v[57:60], v19 offset:48
	ds_read_b128 v[61:64], v23 offset:48
	;; [unrolled: 1-line block ×6, first 2 shown]
	s_waitcnt lgkmcnt(4)
	;;#ASMSTART
	v_dot2_f32_f16 v53, v61, v57, v53
	;;#ASMEND
	;;#ASMSTART
	v_dot2_f32_f16 v53, v62, v58, v53
	;;#ASMEND
	;; [unrolled: 3-line block ×4, first 2 shown]
	s_waitcnt lgkmcnt(0)
	;;#ASMSTART
	v_dot2_f32_f16 v14, v61, v77, v14
	;;#ASMEND
	;;#ASMSTART
	v_dot2_f32_f16 v14, v62, v78, v14
	;;#ASMEND
	;; [unrolled: 3-line block ×28, first 2 shown]
	ds_read_b128 v[57:60], v19 offset:64
	ds_read_b128 v[61:64], v23 offset:64
	;; [unrolled: 1-line block ×6, first 2 shown]
	s_waitcnt lgkmcnt(4)
	;;#ASMSTART
	v_dot2_f32_f16 v53, v61, v57, v53
	;;#ASMEND
	;;#ASMSTART
	v_dot2_f32_f16 v53, v62, v58, v53
	;;#ASMEND
	;; [unrolled: 3-line block ×4, first 2 shown]
	s_waitcnt lgkmcnt(0)
	;;#ASMSTART
	v_dot2_f32_f16 v14, v61, v77, v14
	;;#ASMEND
	;;#ASMSTART
	v_dot2_f32_f16 v14, v62, v78, v14
	;;#ASMEND
	;; [unrolled: 3-line block ×28, first 2 shown]
	ds_read_b128 v[57:60], v19 offset:80
	ds_read_b128 v[61:64], v23 offset:80
	;; [unrolled: 1-line block ×6, first 2 shown]
	s_waitcnt lgkmcnt(4)
	;;#ASMSTART
	v_dot2_f32_f16 v53, v61, v57, v53
	;;#ASMEND
	;;#ASMSTART
	v_dot2_f32_f16 v53, v62, v58, v53
	;;#ASMEND
	;; [unrolled: 3-line block ×4, first 2 shown]
	s_waitcnt lgkmcnt(0)
	;;#ASMSTART
	v_dot2_f32_f16 v14, v61, v77, v14
	;;#ASMEND
	;;#ASMSTART
	v_dot2_f32_f16 v14, v62, v78, v14
	;;#ASMEND
	;; [unrolled: 3-line block ×28, first 2 shown]
	ds_read_b128 v[57:60], v19 offset:96
	ds_read_b128 v[61:64], v23 offset:96
	;; [unrolled: 1-line block ×6, first 2 shown]
	s_waitcnt lgkmcnt(4)
	;;#ASMSTART
	v_dot2_f32_f16 v53, v61, v57, v53
	;;#ASMEND
	;;#ASMSTART
	v_dot2_f32_f16 v53, v62, v58, v53
	;;#ASMEND
	;; [unrolled: 3-line block ×4, first 2 shown]
	s_waitcnt lgkmcnt(0)
	;;#ASMSTART
	v_dot2_f32_f16 v14, v61, v77, v14
	;;#ASMEND
	;;#ASMSTART
	v_dot2_f32_f16 v14, v62, v78, v14
	;;#ASMEND
	;; [unrolled: 3-line block ×28, first 2 shown]
	ds_read_b128 v[57:60], v19 offset:112
	ds_read_b128 v[61:64], v23 offset:112
	;; [unrolled: 1-line block ×6, first 2 shown]
	s_waitcnt lgkmcnt(4)
	;;#ASMSTART
	v_dot2_f32_f16 v53, v61, v57, v53
	;;#ASMEND
	;;#ASMSTART
	v_dot2_f32_f16 v53, v62, v58, v53
	;;#ASMEND
	;; [unrolled: 3-line block ×4, first 2 shown]
	s_waitcnt lgkmcnt(0)
	;;#ASMSTART
	v_dot2_f32_f16 v14, v61, v77, v14
	;;#ASMEND
	;;#ASMSTART
	v_dot2_f32_f16 v14, v62, v78, v14
	;;#ASMEND
	;; [unrolled: 3-line block ×28, first 2 shown]
	s_barrier
	global_load_dwordx4 v[57:60], v[1:2], off offset:128
	global_load_dwordx4 v[61:64], v[3:4], off offset:128
	s_waitcnt vmcnt(1)
	ds_write_b128 v21, v[57:60]
	s_waitcnt vmcnt(0)
	ds_write_b128 v22, v[61:64]
	s_waitcnt lgkmcnt(0)
	s_barrier
	ds_read_b128 v[57:60], v19 offset:128
	ds_read_b128 v[61:64], v23
	ds_read_b128 v[65:68], v23 offset:4608
	ds_read_b128 v[69:72], v23 offset:9216
	;; [unrolled: 1-line block ×4, first 2 shown]
	s_waitcnt lgkmcnt(4)
	;;#ASMSTART
	v_dot2_f32_f16 v53, v61, v57, v53
	;;#ASMEND
	;;#ASMSTART
	v_dot2_f32_f16 v53, v62, v58, v53
	;;#ASMEND
	;; [unrolled: 3-line block ×4, first 2 shown]
	s_waitcnt lgkmcnt(0)
	;;#ASMSTART
	v_dot2_f32_f16 v14, v61, v77, v14
	;;#ASMEND
	;;#ASMSTART
	v_dot2_f32_f16 v14, v62, v78, v14
	;;#ASMEND
	;;#ASMSTART
	v_dot2_f32_f16 v14, v63, v79, v14
	;;#ASMEND
	;;#ASMSTART
	v_dot2_f32_f16 v14, v64, v80, v14
	;;#ASMEND
	;;#ASMSTART
	v_dot2_f32_f16 v54, v65, v57, v54
	;;#ASMEND
	;;#ASMSTART
	v_dot2_f32_f16 v54, v66, v58, v54
	;;#ASMEND
	;;#ASMSTART
	v_dot2_f32_f16 v54, v67, v59, v54
	;;#ASMEND
	;;#ASMSTART
	v_dot2_f32_f16 v54, v68, v60, v54
	;;#ASMEND
	;;#ASMSTART
	v_dot2_f32_f16 v15, v65, v77, v15
	;;#ASMEND
	;;#ASMSTART
	v_dot2_f32_f16 v15, v66, v78, v15
	;;#ASMEND
	;;#ASMSTART
	v_dot2_f32_f16 v15, v67, v79, v15
	;;#ASMEND
	;;#ASMSTART
	v_dot2_f32_f16 v15, v68, v80, v15
	;;#ASMEND
	;;#ASMSTART
	v_dot2_f32_f16 v55, v69, v57, v55
	;;#ASMEND
	;;#ASMSTART
	v_dot2_f32_f16 v55, v70, v58, v55
	;;#ASMEND
	;;#ASMSTART
	v_dot2_f32_f16 v55, v71, v59, v55
	;;#ASMEND
	;;#ASMSTART
	v_dot2_f32_f16 v55, v72, v60, v55
	;;#ASMEND
	;;#ASMSTART
	v_dot2_f32_f16 v51, v69, v77, v51
	;;#ASMEND
	;;#ASMSTART
	v_dot2_f32_f16 v51, v70, v78, v51
	;;#ASMEND
	;;#ASMSTART
	v_dot2_f32_f16 v51, v71, v79, v51
	;;#ASMEND
	;;#ASMSTART
	v_dot2_f32_f16 v51, v72, v80, v51
	;;#ASMEND
	;;#ASMSTART
	v_dot2_f32_f16 v56, v73, v57, v56
	;;#ASMEND
	;;#ASMSTART
	v_dot2_f32_f16 v56, v74, v58, v56
	;;#ASMEND
	;;#ASMSTART
	v_dot2_f32_f16 v56, v75, v59, v56
	;;#ASMEND
	;;#ASMSTART
	v_dot2_f32_f16 v56, v76, v60, v56
	;;#ASMEND
	;;#ASMSTART
	v_dot2_f32_f16 v52, v73, v77, v52
	;;#ASMEND
	;;#ASMSTART
	v_dot2_f32_f16 v52, v74, v78, v52
	;;#ASMEND
	;;#ASMSTART
	v_dot2_f32_f16 v52, v75, v79, v52
	;;#ASMEND
	;;#ASMSTART
	v_dot2_f32_f16 v52, v76, v80, v52
	;;#ASMEND
	ds_read_b128 v[57:60], v19 offset:144
	ds_read_b128 v[61:64], v23 offset:16
	;; [unrolled: 1-line block ×6, first 2 shown]
	s_waitcnt lgkmcnt(4)
	;;#ASMSTART
	v_dot2_f32_f16 v53, v61, v57, v53
	;;#ASMEND
	;;#ASMSTART
	v_dot2_f32_f16 v53, v62, v58, v53
	;;#ASMEND
	;;#ASMSTART
	v_dot2_f32_f16 v53, v63, v59, v53
	;;#ASMEND
	;;#ASMSTART
	v_dot2_f32_f16 v53, v64, v60, v53
	;;#ASMEND
	s_waitcnt lgkmcnt(0)
	;;#ASMSTART
	v_dot2_f32_f16 v14, v61, v77, v14
	;;#ASMEND
	;;#ASMSTART
	v_dot2_f32_f16 v14, v62, v78, v14
	;;#ASMEND
	;; [unrolled: 3-line block ×28, first 2 shown]
	ds_read_b128 v[57:60], v19 offset:160
	ds_read_b128 v[61:64], v23 offset:32
	;; [unrolled: 1-line block ×6, first 2 shown]
	s_waitcnt lgkmcnt(4)
	;;#ASMSTART
	v_dot2_f32_f16 v53, v61, v57, v53
	;;#ASMEND
	;;#ASMSTART
	v_dot2_f32_f16 v53, v62, v58, v53
	;;#ASMEND
	;; [unrolled: 3-line block ×4, first 2 shown]
	s_waitcnt lgkmcnt(0)
	;;#ASMSTART
	v_dot2_f32_f16 v14, v61, v77, v14
	;;#ASMEND
	;;#ASMSTART
	v_dot2_f32_f16 v14, v62, v78, v14
	;;#ASMEND
	;; [unrolled: 3-line block ×28, first 2 shown]
	ds_read_b128 v[57:60], v19 offset:176
	ds_read_b128 v[61:64], v23 offset:48
	;; [unrolled: 1-line block ×6, first 2 shown]
	s_waitcnt lgkmcnt(4)
	;;#ASMSTART
	v_dot2_f32_f16 v53, v61, v57, v53
	;;#ASMEND
	;;#ASMSTART
	v_dot2_f32_f16 v53, v62, v58, v53
	;;#ASMEND
	;; [unrolled: 3-line block ×4, first 2 shown]
	s_waitcnt lgkmcnt(0)
	;;#ASMSTART
	v_dot2_f32_f16 v14, v61, v77, v14
	;;#ASMEND
	;;#ASMSTART
	v_dot2_f32_f16 v14, v62, v78, v14
	;;#ASMEND
	;; [unrolled: 3-line block ×28, first 2 shown]
	ds_read_b128 v[57:60], v19 offset:192
	ds_read_b128 v[61:64], v23 offset:64
	;; [unrolled: 1-line block ×6, first 2 shown]
	s_waitcnt lgkmcnt(4)
	;;#ASMSTART
	v_dot2_f32_f16 v53, v61, v57, v53
	;;#ASMEND
	;;#ASMSTART
	v_dot2_f32_f16 v53, v62, v58, v53
	;;#ASMEND
	;; [unrolled: 3-line block ×4, first 2 shown]
	s_waitcnt lgkmcnt(0)
	;;#ASMSTART
	v_dot2_f32_f16 v14, v61, v77, v14
	;;#ASMEND
	;;#ASMSTART
	v_dot2_f32_f16 v14, v62, v78, v14
	;;#ASMEND
	;; [unrolled: 3-line block ×28, first 2 shown]
	ds_read_b128 v[57:60], v19 offset:208
	ds_read_b128 v[61:64], v23 offset:80
	ds_read_b128 v[65:68], v23 offset:4688
	ds_read_b128 v[69:72], v23 offset:9296
	ds_read_b128 v[73:76], v23 offset:13904
	ds_read_b128 v[77:80], v19 offset:1360
	s_waitcnt lgkmcnt(4)
	;;#ASMSTART
	v_dot2_f32_f16 v53, v61, v57, v53
	;;#ASMEND
	;;#ASMSTART
	v_dot2_f32_f16 v53, v62, v58, v53
	;;#ASMEND
	;; [unrolled: 3-line block ×4, first 2 shown]
	s_waitcnt lgkmcnt(0)
	;;#ASMSTART
	v_dot2_f32_f16 v14, v61, v77, v14
	;;#ASMEND
	;;#ASMSTART
	v_dot2_f32_f16 v14, v62, v78, v14
	;;#ASMEND
	;; [unrolled: 3-line block ×28, first 2 shown]
	ds_read_b128 v[57:60], v19 offset:224
	ds_read_b128 v[61:64], v23 offset:96
	;; [unrolled: 1-line block ×6, first 2 shown]
	s_waitcnt lgkmcnt(4)
	;;#ASMSTART
	v_dot2_f32_f16 v53, v61, v57, v53
	;;#ASMEND
	;;#ASMSTART
	v_dot2_f32_f16 v53, v62, v58, v53
	;;#ASMEND
	;;#ASMSTART
	v_dot2_f32_f16 v53, v63, v59, v53
	;;#ASMEND
	;;#ASMSTART
	v_dot2_f32_f16 v53, v64, v60, v53
	;;#ASMEND
	s_waitcnt lgkmcnt(0)
	;;#ASMSTART
	v_dot2_f32_f16 v14, v61, v77, v14
	;;#ASMEND
	;;#ASMSTART
	v_dot2_f32_f16 v14, v62, v78, v14
	;;#ASMEND
	;; [unrolled: 3-line block ×28, first 2 shown]
	ds_read_b128 v[57:60], v19 offset:240
	ds_read_b128 v[61:64], v23 offset:112
	;; [unrolled: 1-line block ×6, first 2 shown]
	s_waitcnt lgkmcnt(4)
	;;#ASMSTART
	v_dot2_f32_f16 v53, v61, v57, v53
	;;#ASMEND
	;;#ASMSTART
	v_dot2_f32_f16 v53, v62, v58, v53
	;;#ASMEND
	;; [unrolled: 3-line block ×4, first 2 shown]
	s_waitcnt lgkmcnt(0)
	;;#ASMSTART
	v_dot2_f32_f16 v14, v61, v77, v14
	;;#ASMEND
	;;#ASMSTART
	v_dot2_f32_f16 v14, v62, v78, v14
	;;#ASMEND
	;; [unrolled: 3-line block ×28, first 2 shown]
	s_barrier
	global_load_dwordx4 v[57:60], v[1:2], off offset:256
	global_load_dwordx4 v[61:64], v[3:4], off offset:256
	s_waitcnt vmcnt(1)
	ds_write_b128 v21, v[57:60]
	s_waitcnt vmcnt(0)
	ds_write_b128 v22, v[61:64]
	s_waitcnt lgkmcnt(0)
	s_barrier
	ds_read_b128 v[57:60], v19 offset:256
	ds_read_b128 v[61:64], v23
	ds_read_b128 v[65:68], v23 offset:4608
	ds_read_b128 v[69:72], v23 offset:9216
	;; [unrolled: 1-line block ×4, first 2 shown]
	s_waitcnt lgkmcnt(4)
	;;#ASMSTART
	v_dot2_f32_f16 v53, v61, v57, v53
	;;#ASMEND
	;;#ASMSTART
	v_dot2_f32_f16 v53, v62, v58, v53
	;;#ASMEND
	;; [unrolled: 3-line block ×4, first 2 shown]
	s_waitcnt lgkmcnt(0)
	;;#ASMSTART
	v_dot2_f32_f16 v14, v61, v77, v14
	;;#ASMEND
	;;#ASMSTART
	v_dot2_f32_f16 v14, v62, v78, v14
	;;#ASMEND
	;; [unrolled: 3-line block ×28, first 2 shown]
	ds_read_b128 v[57:60], v19 offset:272
	ds_read_b128 v[61:64], v23 offset:16
	;; [unrolled: 1-line block ×6, first 2 shown]
	s_waitcnt lgkmcnt(4)
	;;#ASMSTART
	v_dot2_f32_f16 v53, v61, v57, v53
	;;#ASMEND
	;;#ASMSTART
	v_dot2_f32_f16 v53, v62, v58, v53
	;;#ASMEND
	;; [unrolled: 3-line block ×4, first 2 shown]
	s_waitcnt lgkmcnt(0)
	;;#ASMSTART
	v_dot2_f32_f16 v14, v61, v77, v14
	;;#ASMEND
	;;#ASMSTART
	v_dot2_f32_f16 v14, v62, v78, v14
	;;#ASMEND
	;;#ASMSTART
	v_dot2_f32_f16 v14, v63, v79, v14
	;;#ASMEND
	;;#ASMSTART
	v_dot2_f32_f16 v14, v64, v80, v14
	;;#ASMEND
	;;#ASMSTART
	v_dot2_f32_f16 v54, v65, v57, v54
	;;#ASMEND
	;;#ASMSTART
	v_dot2_f32_f16 v54, v66, v58, v54
	;;#ASMEND
	;;#ASMSTART
	v_dot2_f32_f16 v54, v67, v59, v54
	;;#ASMEND
	;;#ASMSTART
	v_dot2_f32_f16 v54, v68, v60, v54
	;;#ASMEND
	;;#ASMSTART
	v_dot2_f32_f16 v15, v65, v77, v15
	;;#ASMEND
	;;#ASMSTART
	v_dot2_f32_f16 v15, v66, v78, v15
	;;#ASMEND
	;;#ASMSTART
	v_dot2_f32_f16 v15, v67, v79, v15
	;;#ASMEND
	;;#ASMSTART
	v_dot2_f32_f16 v15, v68, v80, v15
	;;#ASMEND
	;;#ASMSTART
	v_dot2_f32_f16 v55, v69, v57, v55
	;;#ASMEND
	;;#ASMSTART
	v_dot2_f32_f16 v55, v70, v58, v55
	;;#ASMEND
	;;#ASMSTART
	v_dot2_f32_f16 v55, v71, v59, v55
	;;#ASMEND
	;;#ASMSTART
	v_dot2_f32_f16 v55, v72, v60, v55
	;;#ASMEND
	;;#ASMSTART
	v_dot2_f32_f16 v51, v69, v77, v51
	;;#ASMEND
	;;#ASMSTART
	v_dot2_f32_f16 v51, v70, v78, v51
	;;#ASMEND
	;;#ASMSTART
	v_dot2_f32_f16 v51, v71, v79, v51
	;;#ASMEND
	;;#ASMSTART
	v_dot2_f32_f16 v51, v72, v80, v51
	;;#ASMEND
	;;#ASMSTART
	v_dot2_f32_f16 v56, v73, v57, v56
	;;#ASMEND
	;;#ASMSTART
	v_dot2_f32_f16 v56, v74, v58, v56
	;;#ASMEND
	;;#ASMSTART
	v_dot2_f32_f16 v56, v75, v59, v56
	;;#ASMEND
	;;#ASMSTART
	v_dot2_f32_f16 v56, v76, v60, v56
	;;#ASMEND
	;;#ASMSTART
	v_dot2_f32_f16 v52, v73, v77, v52
	;;#ASMEND
	;;#ASMSTART
	v_dot2_f32_f16 v52, v74, v78, v52
	;;#ASMEND
	;;#ASMSTART
	v_dot2_f32_f16 v52, v75, v79, v52
	;;#ASMEND
	;;#ASMSTART
	v_dot2_f32_f16 v52, v76, v80, v52
	;;#ASMEND
	ds_read_b128 v[57:60], v19 offset:288
	ds_read_b128 v[61:64], v23 offset:32
	;; [unrolled: 1-line block ×6, first 2 shown]
	s_waitcnt lgkmcnt(4)
	;;#ASMSTART
	v_dot2_f32_f16 v53, v61, v57, v53
	;;#ASMEND
	;;#ASMSTART
	v_dot2_f32_f16 v53, v62, v58, v53
	;;#ASMEND
	;; [unrolled: 3-line block ×4, first 2 shown]
	s_waitcnt lgkmcnt(0)
	;;#ASMSTART
	v_dot2_f32_f16 v14, v61, v77, v14
	;;#ASMEND
	;;#ASMSTART
	v_dot2_f32_f16 v14, v62, v78, v14
	;;#ASMEND
	;; [unrolled: 3-line block ×28, first 2 shown]
	ds_read_b128 v[57:60], v19 offset:304
	ds_read_b128 v[61:64], v23 offset:48
	ds_read_b128 v[65:68], v23 offset:4656
	ds_read_b128 v[69:72], v23 offset:9264
	ds_read_b128 v[73:76], v23 offset:13872
	ds_read_b128 v[77:80], v19 offset:1456
	s_waitcnt lgkmcnt(4)
	;;#ASMSTART
	v_dot2_f32_f16 v53, v61, v57, v53
	;;#ASMEND
	;;#ASMSTART
	v_dot2_f32_f16 v53, v62, v58, v53
	;;#ASMEND
	;; [unrolled: 3-line block ×4, first 2 shown]
	s_waitcnt lgkmcnt(0)
	;;#ASMSTART
	v_dot2_f32_f16 v14, v61, v77, v14
	;;#ASMEND
	;;#ASMSTART
	v_dot2_f32_f16 v14, v62, v78, v14
	;;#ASMEND
	;; [unrolled: 3-line block ×28, first 2 shown]
	ds_read_b128 v[57:60], v19 offset:320
	ds_read_b128 v[61:64], v23 offset:64
	;; [unrolled: 1-line block ×6, first 2 shown]
	s_waitcnt lgkmcnt(4)
	;;#ASMSTART
	v_dot2_f32_f16 v53, v61, v57, v53
	;;#ASMEND
	;;#ASMSTART
	v_dot2_f32_f16 v53, v62, v58, v53
	;;#ASMEND
	;; [unrolled: 3-line block ×4, first 2 shown]
	s_waitcnt lgkmcnt(0)
	;;#ASMSTART
	v_dot2_f32_f16 v14, v61, v77, v14
	;;#ASMEND
	;;#ASMSTART
	v_dot2_f32_f16 v14, v62, v78, v14
	;;#ASMEND
	;; [unrolled: 3-line block ×28, first 2 shown]
	ds_read_b128 v[57:60], v19 offset:336
	ds_read_b128 v[61:64], v23 offset:80
	;; [unrolled: 1-line block ×6, first 2 shown]
	s_waitcnt lgkmcnt(4)
	;;#ASMSTART
	v_dot2_f32_f16 v53, v61, v57, v53
	;;#ASMEND
	;;#ASMSTART
	v_dot2_f32_f16 v53, v62, v58, v53
	;;#ASMEND
	;; [unrolled: 3-line block ×4, first 2 shown]
	s_waitcnt lgkmcnt(0)
	;;#ASMSTART
	v_dot2_f32_f16 v14, v61, v77, v14
	;;#ASMEND
	;;#ASMSTART
	v_dot2_f32_f16 v14, v62, v78, v14
	;;#ASMEND
	;; [unrolled: 3-line block ×28, first 2 shown]
	ds_read_b128 v[57:60], v19 offset:352
	ds_read_b128 v[61:64], v23 offset:96
	;; [unrolled: 1-line block ×6, first 2 shown]
	s_waitcnt lgkmcnt(4)
	;;#ASMSTART
	v_dot2_f32_f16 v53, v61, v57, v53
	;;#ASMEND
	;;#ASMSTART
	v_dot2_f32_f16 v53, v62, v58, v53
	;;#ASMEND
	;; [unrolled: 3-line block ×4, first 2 shown]
	s_waitcnt lgkmcnt(0)
	;;#ASMSTART
	v_dot2_f32_f16 v14, v61, v77, v14
	;;#ASMEND
	;;#ASMSTART
	v_dot2_f32_f16 v14, v62, v78, v14
	;;#ASMEND
	;; [unrolled: 3-line block ×28, first 2 shown]
	ds_read_b128 v[57:60], v19 offset:368
	ds_read_b128 v[61:64], v23 offset:112
	;; [unrolled: 1-line block ×6, first 2 shown]
	s_waitcnt lgkmcnt(4)
	;;#ASMSTART
	v_dot2_f32_f16 v53, v61, v57, v53
	;;#ASMEND
	;;#ASMSTART
	v_dot2_f32_f16 v53, v62, v58, v53
	;;#ASMEND
	;; [unrolled: 3-line block ×4, first 2 shown]
	s_waitcnt lgkmcnt(0)
	;;#ASMSTART
	v_dot2_f32_f16 v14, v61, v77, v14
	;;#ASMEND
	;;#ASMSTART
	v_dot2_f32_f16 v14, v62, v78, v14
	;;#ASMEND
	;; [unrolled: 3-line block ×28, first 2 shown]
	s_barrier
	global_load_dwordx4 v[57:60], v[1:2], off offset:384
	global_load_dwordx4 v[61:64], v[3:4], off offset:384
	s_waitcnt vmcnt(1)
	ds_write_b128 v21, v[57:60]
	s_waitcnt vmcnt(0)
	ds_write_b128 v22, v[61:64]
	s_waitcnt lgkmcnt(0)
	s_barrier
	ds_read_b128 v[57:60], v19 offset:384
	ds_read_b128 v[61:64], v23
	ds_read_b128 v[65:68], v23 offset:4608
	ds_read_b128 v[69:72], v23 offset:9216
	;; [unrolled: 1-line block ×4, first 2 shown]
	s_waitcnt lgkmcnt(4)
	;;#ASMSTART
	v_dot2_f32_f16 v53, v61, v57, v53
	;;#ASMEND
	;;#ASMSTART
	v_dot2_f32_f16 v53, v62, v58, v53
	;;#ASMEND
	;;#ASMSTART
	v_dot2_f32_f16 v53, v63, v59, v53
	;;#ASMEND
	;;#ASMSTART
	v_dot2_f32_f16 v53, v64, v60, v53
	;;#ASMEND
	s_waitcnt lgkmcnt(0)
	;;#ASMSTART
	v_dot2_f32_f16 v14, v61, v77, v14
	;;#ASMEND
	;;#ASMSTART
	v_dot2_f32_f16 v14, v62, v78, v14
	;;#ASMEND
	;; [unrolled: 3-line block ×28, first 2 shown]
	ds_read_b128 v[57:60], v19 offset:400
	ds_read_b128 v[61:64], v23 offset:16
	;; [unrolled: 1-line block ×6, first 2 shown]
	s_waitcnt lgkmcnt(4)
	;;#ASMSTART
	v_dot2_f32_f16 v53, v61, v57, v53
	;;#ASMEND
	;;#ASMSTART
	v_dot2_f32_f16 v53, v62, v58, v53
	;;#ASMEND
	;; [unrolled: 3-line block ×4, first 2 shown]
	s_waitcnt lgkmcnt(0)
	;;#ASMSTART
	v_dot2_f32_f16 v14, v61, v77, v14
	;;#ASMEND
	;;#ASMSTART
	v_dot2_f32_f16 v14, v62, v78, v14
	;;#ASMEND
	;; [unrolled: 3-line block ×28, first 2 shown]
	ds_read_b128 v[57:60], v19 offset:416
	ds_read_b128 v[61:64], v23 offset:32
	;; [unrolled: 1-line block ×6, first 2 shown]
	s_waitcnt lgkmcnt(4)
	;;#ASMSTART
	v_dot2_f32_f16 v53, v61, v57, v53
	;;#ASMEND
	;;#ASMSTART
	v_dot2_f32_f16 v53, v62, v58, v53
	;;#ASMEND
	;; [unrolled: 3-line block ×4, first 2 shown]
	s_waitcnt lgkmcnt(0)
	;;#ASMSTART
	v_dot2_f32_f16 v14, v61, v77, v14
	;;#ASMEND
	;;#ASMSTART
	v_dot2_f32_f16 v14, v62, v78, v14
	;;#ASMEND
	;; [unrolled: 3-line block ×28, first 2 shown]
	ds_read_b128 v[57:60], v19 offset:432
	ds_read_b128 v[61:64], v23 offset:48
	;; [unrolled: 1-line block ×6, first 2 shown]
	s_waitcnt lgkmcnt(4)
	;;#ASMSTART
	v_dot2_f32_f16 v53, v61, v57, v53
	;;#ASMEND
	;;#ASMSTART
	v_dot2_f32_f16 v53, v62, v58, v53
	;;#ASMEND
	;; [unrolled: 3-line block ×4, first 2 shown]
	s_waitcnt lgkmcnt(0)
	;;#ASMSTART
	v_dot2_f32_f16 v14, v61, v77, v14
	;;#ASMEND
	;;#ASMSTART
	v_dot2_f32_f16 v14, v62, v78, v14
	;;#ASMEND
	;; [unrolled: 3-line block ×28, first 2 shown]
	ds_read_b128 v[57:60], v19 offset:448
	ds_read_b128 v[61:64], v23 offset:64
	;; [unrolled: 1-line block ×6, first 2 shown]
	s_waitcnt lgkmcnt(4)
	;;#ASMSTART
	v_dot2_f32_f16 v53, v61, v57, v53
	;;#ASMEND
	;;#ASMSTART
	v_dot2_f32_f16 v53, v62, v58, v53
	;;#ASMEND
	;; [unrolled: 3-line block ×4, first 2 shown]
	s_waitcnt lgkmcnt(0)
	;;#ASMSTART
	v_dot2_f32_f16 v14, v61, v77, v14
	;;#ASMEND
	;;#ASMSTART
	v_dot2_f32_f16 v14, v62, v78, v14
	;;#ASMEND
	;; [unrolled: 3-line block ×28, first 2 shown]
	ds_read_b128 v[57:60], v19 offset:464
	ds_read_b128 v[61:64], v23 offset:80
	;; [unrolled: 1-line block ×6, first 2 shown]
	s_waitcnt lgkmcnt(4)
	;;#ASMSTART
	v_dot2_f32_f16 v53, v61, v57, v53
	;;#ASMEND
	;;#ASMSTART
	v_dot2_f32_f16 v53, v62, v58, v53
	;;#ASMEND
	;;#ASMSTART
	v_dot2_f32_f16 v53, v63, v59, v53
	;;#ASMEND
	;;#ASMSTART
	v_dot2_f32_f16 v53, v64, v60, v53
	;;#ASMEND
	s_waitcnt lgkmcnt(0)
	;;#ASMSTART
	v_dot2_f32_f16 v14, v61, v77, v14
	;;#ASMEND
	;;#ASMSTART
	v_dot2_f32_f16 v14, v62, v78, v14
	;;#ASMEND
	;; [unrolled: 3-line block ×28, first 2 shown]
	ds_read_b128 v[57:60], v19 offset:480
	ds_read_b128 v[61:64], v23 offset:96
	ds_read_b128 v[65:68], v23 offset:4704
	ds_read_b128 v[69:72], v23 offset:9312
	ds_read_b128 v[73:76], v23 offset:13920
	ds_read_b128 v[77:80], v19 offset:1632
	s_waitcnt lgkmcnt(4)
	;;#ASMSTART
	v_dot2_f32_f16 v53, v61, v57, v53
	;;#ASMEND
	;;#ASMSTART
	v_dot2_f32_f16 v53, v62, v58, v53
	;;#ASMEND
	;; [unrolled: 3-line block ×4, first 2 shown]
	s_waitcnt lgkmcnt(0)
	;;#ASMSTART
	v_dot2_f32_f16 v14, v61, v77, v14
	;;#ASMEND
	;;#ASMSTART
	v_dot2_f32_f16 v14, v62, v78, v14
	;;#ASMEND
	;; [unrolled: 3-line block ×28, first 2 shown]
	ds_read_b128 v[57:60], v19 offset:496
	ds_read_b128 v[61:64], v23 offset:112
	;; [unrolled: 1-line block ×6, first 2 shown]
	s_waitcnt lgkmcnt(4)
	;;#ASMSTART
	v_dot2_f32_f16 v53, v61, v57, v53
	;;#ASMEND
	;;#ASMSTART
	v_dot2_f32_f16 v53, v62, v58, v53
	;;#ASMEND
	;; [unrolled: 3-line block ×4, first 2 shown]
	s_waitcnt lgkmcnt(0)
	;;#ASMSTART
	v_dot2_f32_f16 v14, v61, v77, v14
	;;#ASMEND
	;;#ASMSTART
	v_dot2_f32_f16 v14, v62, v78, v14
	;;#ASMEND
	;; [unrolled: 3-line block ×28, first 2 shown]
	s_barrier
	global_load_dwordx4 v[57:60], v[1:2], off offset:512
	global_load_dwordx4 v[61:64], v[3:4], off offset:512
	s_waitcnt vmcnt(1)
	ds_write_b128 v21, v[57:60]
	s_waitcnt vmcnt(0)
	ds_write_b128 v22, v[61:64]
	s_waitcnt lgkmcnt(0)
	s_barrier
	ds_read_b128 v[57:60], v19 offset:512
	ds_read_b128 v[61:64], v23
	ds_read_b128 v[65:68], v23 offset:4608
	ds_read_b128 v[69:72], v23 offset:9216
	;; [unrolled: 1-line block ×4, first 2 shown]
	s_waitcnt lgkmcnt(4)
	;;#ASMSTART
	v_dot2_f32_f16 v53, v61, v57, v53
	;;#ASMEND
	;;#ASMSTART
	v_dot2_f32_f16 v53, v62, v58, v53
	;;#ASMEND
	;; [unrolled: 3-line block ×4, first 2 shown]
	s_waitcnt lgkmcnt(0)
	;;#ASMSTART
	v_dot2_f32_f16 v14, v61, v77, v14
	;;#ASMEND
	;;#ASMSTART
	v_dot2_f32_f16 v14, v62, v78, v14
	;;#ASMEND
	;; [unrolled: 3-line block ×28, first 2 shown]
	ds_read_b128 v[57:60], v19 offset:528
	ds_read_b128 v[61:64], v23 offset:16
	;; [unrolled: 1-line block ×6, first 2 shown]
	s_waitcnt lgkmcnt(4)
	;;#ASMSTART
	v_dot2_f32_f16 v53, v61, v57, v53
	;;#ASMEND
	;;#ASMSTART
	v_dot2_f32_f16 v53, v62, v58, v53
	;;#ASMEND
	;; [unrolled: 3-line block ×4, first 2 shown]
	s_waitcnt lgkmcnt(0)
	;;#ASMSTART
	v_dot2_f32_f16 v14, v61, v77, v14
	;;#ASMEND
	;;#ASMSTART
	v_dot2_f32_f16 v14, v62, v78, v14
	;;#ASMEND
	;; [unrolled: 3-line block ×28, first 2 shown]
	ds_read_b128 v[57:60], v19 offset:544
	ds_read_b128 v[61:64], v23 offset:32
	ds_read_b128 v[65:68], v23 offset:4640
	ds_read_b128 v[69:72], v23 offset:9248
	ds_read_b128 v[73:76], v23 offset:13856
	ds_read_b128 v[77:80], v19 offset:1696
	s_waitcnt lgkmcnt(4)
	;;#ASMSTART
	v_dot2_f32_f16 v53, v61, v57, v53
	;;#ASMEND
	;;#ASMSTART
	v_dot2_f32_f16 v53, v62, v58, v53
	;;#ASMEND
	;; [unrolled: 3-line block ×4, first 2 shown]
	s_waitcnt lgkmcnt(0)
	;;#ASMSTART
	v_dot2_f32_f16 v14, v61, v77, v14
	;;#ASMEND
	;;#ASMSTART
	v_dot2_f32_f16 v14, v62, v78, v14
	;;#ASMEND
	;; [unrolled: 3-line block ×28, first 2 shown]
	ds_read_b128 v[57:60], v19 offset:560
	ds_read_b128 v[61:64], v23 offset:48
	;; [unrolled: 1-line block ×6, first 2 shown]
	s_waitcnt lgkmcnt(4)
	;;#ASMSTART
	v_dot2_f32_f16 v53, v61, v57, v53
	;;#ASMEND
	;;#ASMSTART
	v_dot2_f32_f16 v53, v62, v58, v53
	;;#ASMEND
	;; [unrolled: 3-line block ×4, first 2 shown]
	s_waitcnt lgkmcnt(0)
	;;#ASMSTART
	v_dot2_f32_f16 v14, v61, v77, v14
	;;#ASMEND
	;;#ASMSTART
	v_dot2_f32_f16 v14, v62, v78, v14
	;;#ASMEND
	;; [unrolled: 3-line block ×28, first 2 shown]
	ds_read_b128 v[57:60], v19 offset:576
	ds_read_b128 v[61:64], v23 offset:64
	;; [unrolled: 1-line block ×6, first 2 shown]
	s_waitcnt lgkmcnt(4)
	;;#ASMSTART
	v_dot2_f32_f16 v53, v61, v57, v53
	;;#ASMEND
	;;#ASMSTART
	v_dot2_f32_f16 v53, v62, v58, v53
	;;#ASMEND
	;; [unrolled: 3-line block ×4, first 2 shown]
	s_waitcnt lgkmcnt(0)
	;;#ASMSTART
	v_dot2_f32_f16 v14, v61, v77, v14
	;;#ASMEND
	;;#ASMSTART
	v_dot2_f32_f16 v14, v62, v78, v14
	;;#ASMEND
	;; [unrolled: 3-line block ×28, first 2 shown]
	ds_read_b128 v[57:60], v19 offset:592
	ds_read_b128 v[61:64], v23 offset:80
	;; [unrolled: 1-line block ×6, first 2 shown]
	s_waitcnt lgkmcnt(4)
	;;#ASMSTART
	v_dot2_f32_f16 v53, v61, v57, v53
	;;#ASMEND
	;;#ASMSTART
	v_dot2_f32_f16 v53, v62, v58, v53
	;;#ASMEND
	;; [unrolled: 3-line block ×4, first 2 shown]
	s_waitcnt lgkmcnt(0)
	;;#ASMSTART
	v_dot2_f32_f16 v14, v61, v77, v14
	;;#ASMEND
	;;#ASMSTART
	v_dot2_f32_f16 v14, v62, v78, v14
	;;#ASMEND
	;; [unrolled: 3-line block ×28, first 2 shown]
	ds_read_b128 v[57:60], v19 offset:608
	ds_read_b128 v[61:64], v23 offset:96
	;; [unrolled: 1-line block ×6, first 2 shown]
	s_waitcnt lgkmcnt(4)
	;;#ASMSTART
	v_dot2_f32_f16 v53, v61, v57, v53
	;;#ASMEND
	;;#ASMSTART
	v_dot2_f32_f16 v53, v62, v58, v53
	;;#ASMEND
	;; [unrolled: 3-line block ×4, first 2 shown]
	s_waitcnt lgkmcnt(0)
	;;#ASMSTART
	v_dot2_f32_f16 v14, v61, v77, v14
	;;#ASMEND
	;;#ASMSTART
	v_dot2_f32_f16 v14, v62, v78, v14
	;;#ASMEND
	;; [unrolled: 3-line block ×28, first 2 shown]
	ds_read_b128 v[57:60], v19 offset:624
	ds_read_b128 v[61:64], v23 offset:112
	;; [unrolled: 1-line block ×6, first 2 shown]
	s_waitcnt lgkmcnt(4)
	;;#ASMSTART
	v_dot2_f32_f16 v53, v61, v57, v53
	;;#ASMEND
	;;#ASMSTART
	v_dot2_f32_f16 v53, v62, v58, v53
	;;#ASMEND
	;; [unrolled: 3-line block ×4, first 2 shown]
	s_waitcnt lgkmcnt(0)
	;;#ASMSTART
	v_dot2_f32_f16 v14, v61, v77, v14
	;;#ASMEND
	;;#ASMSTART
	v_dot2_f32_f16 v14, v62, v78, v14
	;;#ASMEND
	;; [unrolled: 3-line block ×28, first 2 shown]
	s_barrier
	global_load_dwordx4 v[57:60], v[1:2], off offset:640
	global_load_dwordx4 v[61:64], v[3:4], off offset:640
	s_waitcnt vmcnt(1)
	ds_write_b128 v21, v[57:60]
	s_waitcnt vmcnt(0)
	ds_write_b128 v22, v[61:64]
	s_waitcnt lgkmcnt(0)
	s_barrier
	ds_read_b128 v[57:60], v19 offset:640
	ds_read_b128 v[61:64], v23
	ds_read_b128 v[65:68], v23 offset:4608
	ds_read_b128 v[69:72], v23 offset:9216
	ds_read_b128 v[73:76], v23 offset:13824
	ds_read_b128 v[77:80], v19 offset:1792
	s_waitcnt lgkmcnt(4)
	;;#ASMSTART
	v_dot2_f32_f16 v53, v61, v57, v53
	;;#ASMEND
	;;#ASMSTART
	v_dot2_f32_f16 v53, v62, v58, v53
	;;#ASMEND
	;; [unrolled: 3-line block ×4, first 2 shown]
	s_waitcnt lgkmcnt(0)
	;;#ASMSTART
	v_dot2_f32_f16 v14, v61, v77, v14
	;;#ASMEND
	;;#ASMSTART
	v_dot2_f32_f16 v14, v62, v78, v14
	;;#ASMEND
	;; [unrolled: 3-line block ×28, first 2 shown]
	ds_read_b128 v[57:60], v19 offset:656
	ds_read_b128 v[61:64], v23 offset:16
	;; [unrolled: 1-line block ×6, first 2 shown]
	s_waitcnt lgkmcnt(4)
	;;#ASMSTART
	v_dot2_f32_f16 v53, v61, v57, v53
	;;#ASMEND
	;;#ASMSTART
	v_dot2_f32_f16 v53, v62, v58, v53
	;;#ASMEND
	;; [unrolled: 3-line block ×4, first 2 shown]
	s_waitcnt lgkmcnt(0)
	;;#ASMSTART
	v_dot2_f32_f16 v14, v61, v77, v14
	;;#ASMEND
	;;#ASMSTART
	v_dot2_f32_f16 v14, v62, v78, v14
	;;#ASMEND
	;; [unrolled: 3-line block ×28, first 2 shown]
	ds_read_b128 v[57:60], v19 offset:672
	ds_read_b128 v[61:64], v23 offset:32
	;; [unrolled: 1-line block ×6, first 2 shown]
	s_waitcnt lgkmcnt(4)
	;;#ASMSTART
	v_dot2_f32_f16 v53, v61, v57, v53
	;;#ASMEND
	;;#ASMSTART
	v_dot2_f32_f16 v53, v62, v58, v53
	;;#ASMEND
	;; [unrolled: 3-line block ×4, first 2 shown]
	s_waitcnt lgkmcnt(0)
	;;#ASMSTART
	v_dot2_f32_f16 v14, v61, v77, v14
	;;#ASMEND
	;;#ASMSTART
	v_dot2_f32_f16 v14, v62, v78, v14
	;;#ASMEND
	;; [unrolled: 3-line block ×28, first 2 shown]
	ds_read_b128 v[57:60], v19 offset:688
	ds_read_b128 v[61:64], v23 offset:48
	;; [unrolled: 1-line block ×6, first 2 shown]
	s_waitcnt lgkmcnt(4)
	;;#ASMSTART
	v_dot2_f32_f16 v53, v61, v57, v53
	;;#ASMEND
	;;#ASMSTART
	v_dot2_f32_f16 v53, v62, v58, v53
	;;#ASMEND
	;; [unrolled: 3-line block ×4, first 2 shown]
	s_waitcnt lgkmcnt(0)
	;;#ASMSTART
	v_dot2_f32_f16 v14, v61, v77, v14
	;;#ASMEND
	;;#ASMSTART
	v_dot2_f32_f16 v14, v62, v78, v14
	;;#ASMEND
	;; [unrolled: 3-line block ×28, first 2 shown]
	ds_read_b128 v[57:60], v19 offset:704
	ds_read_b128 v[61:64], v23 offset:64
	;; [unrolled: 1-line block ×6, first 2 shown]
	s_waitcnt lgkmcnt(4)
	;;#ASMSTART
	v_dot2_f32_f16 v53, v61, v57, v53
	;;#ASMEND
	;;#ASMSTART
	v_dot2_f32_f16 v53, v62, v58, v53
	;;#ASMEND
	;; [unrolled: 3-line block ×4, first 2 shown]
	s_waitcnt lgkmcnt(0)
	;;#ASMSTART
	v_dot2_f32_f16 v14, v61, v77, v14
	;;#ASMEND
	;;#ASMSTART
	v_dot2_f32_f16 v14, v62, v78, v14
	;;#ASMEND
	;; [unrolled: 3-line block ×28, first 2 shown]
	ds_read_b128 v[57:60], v19 offset:720
	ds_read_b128 v[61:64], v23 offset:80
	;; [unrolled: 1-line block ×6, first 2 shown]
	s_waitcnt lgkmcnt(4)
	;;#ASMSTART
	v_dot2_f32_f16 v53, v61, v57, v53
	;;#ASMEND
	;;#ASMSTART
	v_dot2_f32_f16 v53, v62, v58, v53
	;;#ASMEND
	;; [unrolled: 3-line block ×4, first 2 shown]
	s_waitcnt lgkmcnt(0)
	;;#ASMSTART
	v_dot2_f32_f16 v14, v61, v77, v14
	;;#ASMEND
	;;#ASMSTART
	v_dot2_f32_f16 v14, v62, v78, v14
	;;#ASMEND
	;; [unrolled: 3-line block ×28, first 2 shown]
	ds_read_b128 v[57:60], v19 offset:736
	ds_read_b128 v[61:64], v23 offset:96
	;; [unrolled: 1-line block ×6, first 2 shown]
	s_waitcnt lgkmcnt(4)
	;;#ASMSTART
	v_dot2_f32_f16 v53, v61, v57, v53
	;;#ASMEND
	;;#ASMSTART
	v_dot2_f32_f16 v53, v62, v58, v53
	;;#ASMEND
	;; [unrolled: 3-line block ×4, first 2 shown]
	s_waitcnt lgkmcnt(0)
	;;#ASMSTART
	v_dot2_f32_f16 v14, v61, v77, v14
	;;#ASMEND
	;;#ASMSTART
	v_dot2_f32_f16 v14, v62, v78, v14
	;;#ASMEND
	;; [unrolled: 3-line block ×28, first 2 shown]
	ds_read_b128 v[57:60], v19 offset:752
	ds_read_b128 v[61:64], v23 offset:112
	;; [unrolled: 1-line block ×6, first 2 shown]
	s_waitcnt lgkmcnt(4)
	;;#ASMSTART
	v_dot2_f32_f16 v53, v61, v57, v53
	;;#ASMEND
	;;#ASMSTART
	v_dot2_f32_f16 v53, v62, v58, v53
	;;#ASMEND
	;; [unrolled: 3-line block ×4, first 2 shown]
	s_waitcnt lgkmcnt(0)
	;;#ASMSTART
	v_dot2_f32_f16 v14, v61, v77, v14
	;;#ASMEND
	;;#ASMSTART
	v_dot2_f32_f16 v14, v62, v78, v14
	;;#ASMEND
	;; [unrolled: 3-line block ×28, first 2 shown]
	s_barrier
	global_load_dwordx4 v[57:60], v[1:2], off offset:768
	global_load_dwordx4 v[61:64], v[3:4], off offset:768
	s_waitcnt vmcnt(1)
	ds_write_b128 v21, v[57:60]
	s_waitcnt vmcnt(0)
	ds_write_b128 v22, v[61:64]
	s_waitcnt lgkmcnt(0)
	s_barrier
	ds_read_b128 v[57:60], v19 offset:768
	ds_read_b128 v[61:64], v23
	ds_read_b128 v[65:68], v23 offset:4608
	ds_read_b128 v[69:72], v23 offset:9216
	;; [unrolled: 1-line block ×4, first 2 shown]
	s_waitcnt lgkmcnt(4)
	;;#ASMSTART
	v_dot2_f32_f16 v53, v61, v57, v53
	;;#ASMEND
	;;#ASMSTART
	v_dot2_f32_f16 v53, v62, v58, v53
	;;#ASMEND
	;; [unrolled: 3-line block ×4, first 2 shown]
	s_waitcnt lgkmcnt(0)
	;;#ASMSTART
	v_dot2_f32_f16 v14, v61, v77, v14
	;;#ASMEND
	;;#ASMSTART
	v_dot2_f32_f16 v14, v62, v78, v14
	;;#ASMEND
	;;#ASMSTART
	v_dot2_f32_f16 v14, v63, v79, v14
	;;#ASMEND
	;;#ASMSTART
	v_dot2_f32_f16 v14, v64, v80, v14
	;;#ASMEND
	;;#ASMSTART
	v_dot2_f32_f16 v54, v65, v57, v54
	;;#ASMEND
	;;#ASMSTART
	v_dot2_f32_f16 v54, v66, v58, v54
	;;#ASMEND
	;;#ASMSTART
	v_dot2_f32_f16 v54, v67, v59, v54
	;;#ASMEND
	;;#ASMSTART
	v_dot2_f32_f16 v54, v68, v60, v54
	;;#ASMEND
	;;#ASMSTART
	v_dot2_f32_f16 v15, v65, v77, v15
	;;#ASMEND
	;;#ASMSTART
	v_dot2_f32_f16 v15, v66, v78, v15
	;;#ASMEND
	;;#ASMSTART
	v_dot2_f32_f16 v15, v67, v79, v15
	;;#ASMEND
	;;#ASMSTART
	v_dot2_f32_f16 v15, v68, v80, v15
	;;#ASMEND
	;;#ASMSTART
	v_dot2_f32_f16 v55, v69, v57, v55
	;;#ASMEND
	;;#ASMSTART
	v_dot2_f32_f16 v55, v70, v58, v55
	;;#ASMEND
	;;#ASMSTART
	v_dot2_f32_f16 v55, v71, v59, v55
	;;#ASMEND
	;;#ASMSTART
	v_dot2_f32_f16 v55, v72, v60, v55
	;;#ASMEND
	;;#ASMSTART
	v_dot2_f32_f16 v51, v69, v77, v51
	;;#ASMEND
	;;#ASMSTART
	v_dot2_f32_f16 v51, v70, v78, v51
	;;#ASMEND
	;;#ASMSTART
	v_dot2_f32_f16 v51, v71, v79, v51
	;;#ASMEND
	;;#ASMSTART
	v_dot2_f32_f16 v51, v72, v80, v51
	;;#ASMEND
	;;#ASMSTART
	v_dot2_f32_f16 v56, v73, v57, v56
	;;#ASMEND
	;;#ASMSTART
	v_dot2_f32_f16 v56, v74, v58, v56
	;;#ASMEND
	;;#ASMSTART
	v_dot2_f32_f16 v56, v75, v59, v56
	;;#ASMEND
	;;#ASMSTART
	v_dot2_f32_f16 v56, v76, v60, v56
	;;#ASMEND
	;;#ASMSTART
	v_dot2_f32_f16 v52, v73, v77, v52
	;;#ASMEND
	;;#ASMSTART
	v_dot2_f32_f16 v52, v74, v78, v52
	;;#ASMEND
	;;#ASMSTART
	v_dot2_f32_f16 v52, v75, v79, v52
	;;#ASMEND
	;;#ASMSTART
	v_dot2_f32_f16 v52, v76, v80, v52
	;;#ASMEND
	ds_read_b128 v[57:60], v19 offset:784
	ds_read_b128 v[61:64], v23 offset:16
	;; [unrolled: 1-line block ×6, first 2 shown]
	s_waitcnt lgkmcnt(4)
	;;#ASMSTART
	v_dot2_f32_f16 v53, v61, v57, v53
	;;#ASMEND
	;;#ASMSTART
	v_dot2_f32_f16 v53, v62, v58, v53
	;;#ASMEND
	;; [unrolled: 3-line block ×4, first 2 shown]
	s_waitcnt lgkmcnt(0)
	;;#ASMSTART
	v_dot2_f32_f16 v14, v61, v77, v14
	;;#ASMEND
	;;#ASMSTART
	v_dot2_f32_f16 v14, v62, v78, v14
	;;#ASMEND
	;; [unrolled: 3-line block ×28, first 2 shown]
	ds_read_b128 v[57:60], v19 offset:800
	ds_read_b128 v[61:64], v23 offset:32
	;; [unrolled: 1-line block ×6, first 2 shown]
	s_waitcnt lgkmcnt(4)
	;;#ASMSTART
	v_dot2_f32_f16 v53, v61, v57, v53
	;;#ASMEND
	;;#ASMSTART
	v_dot2_f32_f16 v53, v62, v58, v53
	;;#ASMEND
	;; [unrolled: 3-line block ×4, first 2 shown]
	s_waitcnt lgkmcnt(0)
	;;#ASMSTART
	v_dot2_f32_f16 v14, v61, v77, v14
	;;#ASMEND
	;;#ASMSTART
	v_dot2_f32_f16 v14, v62, v78, v14
	;;#ASMEND
	;; [unrolled: 3-line block ×28, first 2 shown]
	ds_read_b128 v[57:60], v19 offset:816
	ds_read_b128 v[61:64], v23 offset:48
	;; [unrolled: 1-line block ×6, first 2 shown]
	s_waitcnt lgkmcnt(4)
	;;#ASMSTART
	v_dot2_f32_f16 v53, v61, v57, v53
	;;#ASMEND
	;;#ASMSTART
	v_dot2_f32_f16 v53, v62, v58, v53
	;;#ASMEND
	;; [unrolled: 3-line block ×4, first 2 shown]
	s_waitcnt lgkmcnt(0)
	;;#ASMSTART
	v_dot2_f32_f16 v14, v61, v77, v14
	;;#ASMEND
	;;#ASMSTART
	v_dot2_f32_f16 v14, v62, v78, v14
	;;#ASMEND
	;; [unrolled: 3-line block ×28, first 2 shown]
	ds_read_b128 v[57:60], v19 offset:832
	ds_read_b128 v[61:64], v23 offset:64
	;; [unrolled: 1-line block ×6, first 2 shown]
	s_waitcnt lgkmcnt(4)
	;;#ASMSTART
	v_dot2_f32_f16 v53, v61, v57, v53
	;;#ASMEND
	;;#ASMSTART
	v_dot2_f32_f16 v53, v62, v58, v53
	;;#ASMEND
	;; [unrolled: 3-line block ×4, first 2 shown]
	s_waitcnt lgkmcnt(0)
	;;#ASMSTART
	v_dot2_f32_f16 v14, v61, v77, v14
	;;#ASMEND
	;;#ASMSTART
	v_dot2_f32_f16 v14, v62, v78, v14
	;;#ASMEND
	;; [unrolled: 3-line block ×28, first 2 shown]
	ds_read_b128 v[57:60], v19 offset:848
	ds_read_b128 v[61:64], v23 offset:80
	;; [unrolled: 1-line block ×6, first 2 shown]
	s_waitcnt lgkmcnt(4)
	;;#ASMSTART
	v_dot2_f32_f16 v53, v61, v57, v53
	;;#ASMEND
	;;#ASMSTART
	v_dot2_f32_f16 v53, v62, v58, v53
	;;#ASMEND
	;; [unrolled: 3-line block ×4, first 2 shown]
	s_waitcnt lgkmcnt(0)
	;;#ASMSTART
	v_dot2_f32_f16 v14, v61, v77, v14
	;;#ASMEND
	;;#ASMSTART
	v_dot2_f32_f16 v14, v62, v78, v14
	;;#ASMEND
	;; [unrolled: 3-line block ×28, first 2 shown]
	ds_read_b128 v[57:60], v19 offset:864
	ds_read_b128 v[61:64], v23 offset:96
	;; [unrolled: 1-line block ×6, first 2 shown]
	s_waitcnt lgkmcnt(4)
	;;#ASMSTART
	v_dot2_f32_f16 v53, v61, v57, v53
	;;#ASMEND
	;;#ASMSTART
	v_dot2_f32_f16 v53, v62, v58, v53
	;;#ASMEND
	;; [unrolled: 3-line block ×4, first 2 shown]
	s_waitcnt lgkmcnt(0)
	;;#ASMSTART
	v_dot2_f32_f16 v14, v61, v77, v14
	;;#ASMEND
	;;#ASMSTART
	v_dot2_f32_f16 v14, v62, v78, v14
	;;#ASMEND
	;; [unrolled: 3-line block ×28, first 2 shown]
	ds_read_b128 v[57:60], v19 offset:880
	ds_read_b128 v[61:64], v23 offset:112
	;; [unrolled: 1-line block ×6, first 2 shown]
	s_waitcnt lgkmcnt(4)
	;;#ASMSTART
	v_dot2_f32_f16 v53, v61, v57, v53
	;;#ASMEND
	;;#ASMSTART
	v_dot2_f32_f16 v53, v62, v58, v53
	;;#ASMEND
	;; [unrolled: 3-line block ×4, first 2 shown]
	s_waitcnt lgkmcnt(0)
	;;#ASMSTART
	v_dot2_f32_f16 v14, v61, v77, v14
	;;#ASMEND
	;;#ASMSTART
	v_dot2_f32_f16 v14, v62, v78, v14
	;;#ASMEND
	;; [unrolled: 3-line block ×28, first 2 shown]
	s_barrier
	global_load_dwordx4 v[57:60], v[1:2], off offset:896
	global_load_dwordx4 v[61:64], v[3:4], off offset:896
	s_waitcnt vmcnt(1)
	ds_write_b128 v21, v[57:60]
	s_waitcnt vmcnt(0)
	ds_write_b128 v22, v[61:64]
	s_waitcnt lgkmcnt(0)
	s_barrier
	ds_read_b128 v[57:60], v19 offset:896
	ds_read_b128 v[61:64], v23
	ds_read_b128 v[65:68], v23 offset:4608
	ds_read_b128 v[69:72], v23 offset:9216
	;; [unrolled: 1-line block ×4, first 2 shown]
	s_waitcnt lgkmcnt(4)
	;;#ASMSTART
	v_dot2_f32_f16 v53, v61, v57, v53
	;;#ASMEND
	;;#ASMSTART
	v_dot2_f32_f16 v53, v62, v58, v53
	;;#ASMEND
	;; [unrolled: 3-line block ×4, first 2 shown]
	s_waitcnt lgkmcnt(0)
	;;#ASMSTART
	v_dot2_f32_f16 v14, v61, v77, v14
	;;#ASMEND
	;;#ASMSTART
	v_dot2_f32_f16 v14, v62, v78, v14
	;;#ASMEND
	;; [unrolled: 3-line block ×28, first 2 shown]
	ds_read_b128 v[57:60], v19 offset:912
	ds_read_b128 v[61:64], v23 offset:16
	ds_read_b128 v[65:68], v23 offset:4624
	ds_read_b128 v[69:72], v23 offset:9232
	ds_read_b128 v[73:76], v23 offset:13840
	ds_read_b128 v[77:80], v19 offset:2064
	s_waitcnt lgkmcnt(4)
	;;#ASMSTART
	v_dot2_f32_f16 v53, v61, v57, v53
	;;#ASMEND
	;;#ASMSTART
	v_dot2_f32_f16 v53, v62, v58, v53
	;;#ASMEND
	;; [unrolled: 3-line block ×4, first 2 shown]
	s_waitcnt lgkmcnt(0)
	;;#ASMSTART
	v_dot2_f32_f16 v14, v61, v77, v14
	;;#ASMEND
	;;#ASMSTART
	v_dot2_f32_f16 v14, v62, v78, v14
	;;#ASMEND
	;; [unrolled: 3-line block ×28, first 2 shown]
	ds_read_b128 v[57:60], v19 offset:928
	ds_read_b128 v[61:64], v23 offset:32
	;; [unrolled: 1-line block ×6, first 2 shown]
	s_waitcnt lgkmcnt(4)
	;;#ASMSTART
	v_dot2_f32_f16 v53, v61, v57, v53
	;;#ASMEND
	;;#ASMSTART
	v_dot2_f32_f16 v53, v62, v58, v53
	;;#ASMEND
	;;#ASMSTART
	v_dot2_f32_f16 v53, v63, v59, v53
	;;#ASMEND
	;;#ASMSTART
	v_dot2_f32_f16 v53, v64, v60, v53
	;;#ASMEND
	s_waitcnt lgkmcnt(0)
	;;#ASMSTART
	v_dot2_f32_f16 v14, v61, v77, v14
	;;#ASMEND
	;;#ASMSTART
	v_dot2_f32_f16 v14, v62, v78, v14
	;;#ASMEND
	;; [unrolled: 3-line block ×28, first 2 shown]
	ds_read_b128 v[57:60], v19 offset:944
	ds_read_b128 v[61:64], v23 offset:48
	;; [unrolled: 1-line block ×6, first 2 shown]
	s_waitcnt lgkmcnt(4)
	;;#ASMSTART
	v_dot2_f32_f16 v53, v61, v57, v53
	;;#ASMEND
	;;#ASMSTART
	v_dot2_f32_f16 v53, v62, v58, v53
	;;#ASMEND
	;; [unrolled: 3-line block ×4, first 2 shown]
	s_waitcnt lgkmcnt(0)
	;;#ASMSTART
	v_dot2_f32_f16 v14, v61, v77, v14
	;;#ASMEND
	;;#ASMSTART
	v_dot2_f32_f16 v14, v62, v78, v14
	;;#ASMEND
	;; [unrolled: 3-line block ×28, first 2 shown]
	ds_read_b128 v[57:60], v19 offset:960
	ds_read_b128 v[61:64], v23 offset:64
	;; [unrolled: 1-line block ×6, first 2 shown]
	s_waitcnt lgkmcnt(4)
	;;#ASMSTART
	v_dot2_f32_f16 v53, v61, v57, v53
	;;#ASMEND
	;;#ASMSTART
	v_dot2_f32_f16 v53, v62, v58, v53
	;;#ASMEND
	;; [unrolled: 3-line block ×4, first 2 shown]
	s_waitcnt lgkmcnt(0)
	;;#ASMSTART
	v_dot2_f32_f16 v14, v61, v77, v14
	;;#ASMEND
	;;#ASMSTART
	v_dot2_f32_f16 v14, v62, v78, v14
	;;#ASMEND
	;; [unrolled: 3-line block ×28, first 2 shown]
	ds_read_b128 v[57:60], v19 offset:976
	ds_read_b128 v[61:64], v23 offset:80
	;; [unrolled: 1-line block ×6, first 2 shown]
	s_waitcnt lgkmcnt(4)
	;;#ASMSTART
	v_dot2_f32_f16 v53, v61, v57, v53
	;;#ASMEND
	;;#ASMSTART
	v_dot2_f32_f16 v53, v62, v58, v53
	;;#ASMEND
	;; [unrolled: 3-line block ×4, first 2 shown]
	s_waitcnt lgkmcnt(0)
	;;#ASMSTART
	v_dot2_f32_f16 v14, v61, v77, v14
	;;#ASMEND
	;;#ASMSTART
	v_dot2_f32_f16 v14, v62, v78, v14
	;;#ASMEND
	;; [unrolled: 3-line block ×28, first 2 shown]
	ds_read_b128 v[57:60], v19 offset:992
	ds_read_b128 v[61:64], v23 offset:96
	ds_read_b128 v[65:68], v23 offset:4704
	ds_read_b128 v[69:72], v23 offset:9312
	ds_read_b128 v[73:76], v23 offset:13920
	ds_read_b128 v[77:80], v19 offset:2144
	s_waitcnt lgkmcnt(4)
	;;#ASMSTART
	v_dot2_f32_f16 v53, v61, v57, v53
	;;#ASMEND
	;;#ASMSTART
	v_dot2_f32_f16 v53, v62, v58, v53
	;;#ASMEND
	;; [unrolled: 3-line block ×4, first 2 shown]
	s_waitcnt lgkmcnt(0)
	;;#ASMSTART
	v_dot2_f32_f16 v14, v61, v77, v14
	;;#ASMEND
	;;#ASMSTART
	v_dot2_f32_f16 v14, v62, v78, v14
	;;#ASMEND
	;; [unrolled: 3-line block ×28, first 2 shown]
	ds_read_b128 v[57:60], v19 offset:1008
	ds_read_b128 v[61:64], v23 offset:112
	;; [unrolled: 1-line block ×6, first 2 shown]
	s_waitcnt lgkmcnt(4)
	;;#ASMSTART
	v_dot2_f32_f16 v53, v61, v57, v53
	;;#ASMEND
	;;#ASMSTART
	v_dot2_f32_f16 v53, v62, v58, v53
	;;#ASMEND
	;; [unrolled: 3-line block ×4, first 2 shown]
	s_waitcnt lgkmcnt(0)
	;;#ASMSTART
	v_dot2_f32_f16 v14, v61, v77, v14
	;;#ASMEND
	;;#ASMSTART
	v_dot2_f32_f16 v14, v62, v78, v14
	;;#ASMEND
	;; [unrolled: 3-line block ×28, first 2 shown]
	s_barrier
	global_load_dwordx4 v[57:60], v[1:2], off offset:1024
	s_nop 0
	global_load_dwordx4 v[1:4], v[3:4], off offset:1024
	s_waitcnt vmcnt(1)
	ds_write_b128 v21, v[57:60]
	s_waitcnt vmcnt(0)
	ds_write_b128 v22, v[1:4]
	s_waitcnt lgkmcnt(0)
	s_barrier
	ds_read_b128 v[1:4], v19 offset:1024
	ds_read_b128 v[57:60], v23
	ds_read_b128 v[61:64], v23 offset:4608
	ds_read_b128 v[65:68], v23 offset:9216
	;; [unrolled: 1-line block ×4, first 2 shown]
	s_waitcnt lgkmcnt(4)
	;;#ASMSTART
	v_dot2_f32_f16 v53, v57, v1, v53
	;;#ASMEND
	;;#ASMSTART
	v_dot2_f32_f16 v53, v58, v2, v53
	;;#ASMEND
	;; [unrolled: 3-line block ×4, first 2 shown]
	s_waitcnt lgkmcnt(0)
	;;#ASMSTART
	v_dot2_f32_f16 v14, v57, v73, v14
	;;#ASMEND
	;;#ASMSTART
	v_dot2_f32_f16 v14, v58, v74, v14
	;;#ASMEND
	;; [unrolled: 3-line block ×28, first 2 shown]
	ds_read_b128 v[1:4], v19 offset:1040
	ds_read_b128 v[57:60], v23 offset:16
	;; [unrolled: 1-line block ×6, first 2 shown]
	s_waitcnt lgkmcnt(4)
	;;#ASMSTART
	v_dot2_f32_f16 v53, v57, v1, v53
	;;#ASMEND
	;;#ASMSTART
	v_dot2_f32_f16 v53, v58, v2, v53
	;;#ASMEND
	;; [unrolled: 3-line block ×4, first 2 shown]
	s_waitcnt lgkmcnt(0)
	;;#ASMSTART
	v_dot2_f32_f16 v14, v57, v73, v14
	;;#ASMEND
	;;#ASMSTART
	v_dot2_f32_f16 v14, v58, v74, v14
	;;#ASMEND
	;; [unrolled: 3-line block ×28, first 2 shown]
	ds_read_b128 v[1:4], v19 offset:1056
	ds_read_b128 v[57:60], v23 offset:32
	;; [unrolled: 1-line block ×6, first 2 shown]
	s_waitcnt lgkmcnt(4)
	;;#ASMSTART
	v_dot2_f32_f16 v53, v57, v1, v53
	;;#ASMEND
	;;#ASMSTART
	v_dot2_f32_f16 v53, v58, v2, v53
	;;#ASMEND
	;; [unrolled: 3-line block ×4, first 2 shown]
	s_waitcnt lgkmcnt(0)
	;;#ASMSTART
	v_dot2_f32_f16 v14, v57, v73, v14
	;;#ASMEND
	;;#ASMSTART
	v_dot2_f32_f16 v14, v58, v74, v14
	;;#ASMEND
	;; [unrolled: 3-line block ×28, first 2 shown]
	ds_read_b128 v[1:4], v19 offset:1072
	ds_read_b128 v[57:60], v23 offset:48
	;; [unrolled: 1-line block ×6, first 2 shown]
	s_waitcnt lgkmcnt(4)
	;;#ASMSTART
	v_dot2_f32_f16 v53, v57, v1, v53
	;;#ASMEND
	;;#ASMSTART
	v_dot2_f32_f16 v53, v58, v2, v53
	;;#ASMEND
	;; [unrolled: 3-line block ×4, first 2 shown]
	s_waitcnt lgkmcnt(0)
	;;#ASMSTART
	v_dot2_f32_f16 v14, v57, v73, v14
	;;#ASMEND
	;;#ASMSTART
	v_dot2_f32_f16 v14, v58, v74, v14
	;;#ASMEND
	;; [unrolled: 3-line block ×28, first 2 shown]
	ds_read_b128 v[1:4], v19 offset:1088
	ds_read_b128 v[57:60], v23 offset:64
	;; [unrolled: 1-line block ×6, first 2 shown]
	s_waitcnt lgkmcnt(4)
	;;#ASMSTART
	v_dot2_f32_f16 v53, v57, v1, v53
	;;#ASMEND
	;;#ASMSTART
	v_dot2_f32_f16 v53, v58, v2, v53
	;;#ASMEND
	;; [unrolled: 3-line block ×4, first 2 shown]
	s_waitcnt lgkmcnt(0)
	;;#ASMSTART
	v_dot2_f32_f16 v14, v57, v73, v14
	;;#ASMEND
	;;#ASMSTART
	v_dot2_f32_f16 v14, v58, v74, v14
	;;#ASMEND
	;; [unrolled: 3-line block ×28, first 2 shown]
	ds_read_b128 v[1:4], v19 offset:1104
	ds_read_b128 v[57:60], v23 offset:80
	;; [unrolled: 1-line block ×6, first 2 shown]
	s_waitcnt lgkmcnt(4)
	;;#ASMSTART
	v_dot2_f32_f16 v53, v57, v1, v53
	;;#ASMEND
	;;#ASMSTART
	v_dot2_f32_f16 v53, v58, v2, v53
	;;#ASMEND
	;; [unrolled: 3-line block ×4, first 2 shown]
	s_waitcnt lgkmcnt(0)
	;;#ASMSTART
	v_dot2_f32_f16 v14, v57, v73, v14
	;;#ASMEND
	;;#ASMSTART
	v_dot2_f32_f16 v14, v58, v74, v14
	;;#ASMEND
	;; [unrolled: 3-line block ×28, first 2 shown]
	ds_read_b128 v[1:4], v19 offset:1120
	ds_read_b128 v[57:60], v23 offset:96
	;; [unrolled: 1-line block ×6, first 2 shown]
	s_waitcnt lgkmcnt(4)
	;;#ASMSTART
	v_dot2_f32_f16 v53, v57, v1, v53
	;;#ASMEND
	;;#ASMSTART
	v_dot2_f32_f16 v53, v58, v2, v53
	;;#ASMEND
	;; [unrolled: 3-line block ×4, first 2 shown]
	s_waitcnt lgkmcnt(0)
	;;#ASMSTART
	v_dot2_f32_f16 v14, v57, v73, v14
	;;#ASMEND
	;;#ASMSTART
	v_dot2_f32_f16 v14, v58, v74, v14
	;;#ASMEND
	;; [unrolled: 3-line block ×28, first 2 shown]
	ds_read_b128 v[1:4], v19 offset:1136
	ds_read_b128 v[57:60], v23 offset:112
	;; [unrolled: 1-line block ×6, first 2 shown]
	s_waitcnt lgkmcnt(4)
	;;#ASMSTART
	v_dot2_f32_f16 v53, v57, v1, v53
	;;#ASMEND
	;;#ASMSTART
	v_dot2_f32_f16 v53, v58, v2, v53
	;;#ASMEND
	;; [unrolled: 3-line block ×4, first 2 shown]
	s_waitcnt lgkmcnt(0)
	;;#ASMSTART
	v_dot2_f32_f16 v14, v57, v73, v14
	;;#ASMEND
	;;#ASMSTART
	v_dot2_f32_f16 v14, v58, v74, v14
	;;#ASMEND
	;; [unrolled: 3-line block ×27, first 2 shown]
	v_cmp_nlt_f32_e64 s[8:9], |v53|, s12
	;;#ASMSTART
	v_dot2_f32_f16 v52, v72, v76, v52
	;;#ASMEND
                                        ; implicit-def: $vgpr57
	s_and_saveexec_b64 s[34:35], s[8:9]
	s_xor_b64 s[8:9], exec, s[34:35]
	s_cbranch_execz .LBB23_18
; %bb.17:                               ;   in Loop: Header=BB23_16 Depth=1
	v_add_f32_e64 v1, |v53|, |v53|
	v_mul_f32_e32 v2, 0x3fb8aa3b, v1
	v_rndne_f32_e32 v3, v2
	v_sub_f32_e32 v4, v2, v3
	v_fma_f32 v2, v1, s13, -v2
	v_fmac_f32_e32 v2, 0x32a5705f, v1
	v_add_f32_e32 v2, v4, v2
	v_cvt_i32_f32_e32 v3, v3
	v_exp_f32_e32 v2, v2
	v_cmp_ngt_f32_e32 vcc, s19, v1
	v_ldexp_f32 v2, v2, v3
	v_cndmask_b32_e32 v2, 0, v2, vcc
	v_cmp_nlt_f32_e32 vcc, s24, v1
	v_cndmask_b32_e32 v1, v34, v2, vcc
	v_add_f32_e32 v1, 1.0, v1
	v_rcp_f32_e32 v1, v1
	v_fma_f32 v57, v1, -2.0, 1.0
.LBB23_18:                              ;   in Loop: Header=BB23_16 Depth=1
	s_andn2_saveexec_b64 s[8:9], s[8:9]
; %bb.19:                               ;   in Loop: Header=BB23_16 Depth=1
	v_mul_f32_e32 v1, v53, v53
	v_mov_b32_e32 v2, 0x3ca908c9
	v_fmac_f32_e32 v2, 0xbbbac73d, v1
	v_fma_f32 v2, v1, v2, v31
	v_fma_f32 v2, v1, v2, v32
	;; [unrolled: 1-line block ×3, first 2 shown]
	v_mul_f32_e64 v2, |v53|, v2
	v_fma_f32 v57, v1, v2, |v53|
; %bb.20:                               ;   in Loop: Header=BB23_16 Depth=1
	s_or_b64 exec, exec, s[8:9]
	v_add_u32_e32 v1, s6, v9
	v_ashrrev_i32_e32 v2, 31, v1
	v_lshlrev_b64 v[1:2], 1, v[1:2]
	v_mov_b32_e32 v3, s31
	v_add_co_u32_e32 v1, vcc, s30, v1
	v_addc_co_u32_e32 v2, vcc, v3, v2, vcc
	global_load_ushort v3, v[1:2], off
	v_cmp_nlt_f32_e64 s[8:9], |v54|, s12
                                        ; implicit-def: $vgpr58
	s_and_saveexec_b64 s[34:35], s[8:9]
	s_xor_b64 s[8:9], exec, s[34:35]
	s_cbranch_execz .LBB23_22
; %bb.21:                               ;   in Loop: Header=BB23_16 Depth=1
	v_add_f32_e64 v4, |v54|, |v54|
	v_mul_f32_e32 v58, 0x3fb8aa3b, v4
	v_rndne_f32_e32 v59, v58
	v_sub_f32_e32 v60, v58, v59
	v_fma_f32 v58, v4, s13, -v58
	v_fmac_f32_e32 v58, 0x32a5705f, v4
	v_add_f32_e32 v58, v60, v58
	v_cvt_i32_f32_e32 v59, v59
	v_exp_f32_e32 v58, v58
	v_cmp_ngt_f32_e32 vcc, s19, v4
	v_ldexp_f32 v58, v58, v59
	v_cndmask_b32_e32 v58, 0, v58, vcc
	v_cmp_nlt_f32_e32 vcc, s24, v4
	v_cndmask_b32_e32 v4, v34, v58, vcc
	v_add_f32_e32 v4, 1.0, v4
	v_rcp_f32_e32 v4, v4
	v_fma_f32 v58, v4, -2.0, 1.0
.LBB23_22:                              ;   in Loop: Header=BB23_16 Depth=1
	s_andn2_saveexec_b64 s[8:9], s[8:9]
; %bb.23:                               ;   in Loop: Header=BB23_16 Depth=1
	v_mul_f32_e32 v4, v54, v54
	v_mov_b32_e32 v58, 0x3ca908c9
	v_fmac_f32_e32 v58, 0xbbbac73d, v4
	v_fma_f32 v58, v4, v58, v31
	v_fma_f32 v58, v4, v58, v32
	;; [unrolled: 1-line block ×3, first 2 shown]
	v_mul_f32_e64 v58, |v54|, v58
	v_fma_f32 v58, v4, v58, |v54|
; %bb.24:                               ;   in Loop: Header=BB23_16 Depth=1
	s_or_b64 exec, exec, s[8:9]
	global_load_ushort v4, v[1:2], off offset:64
	v_cmp_nlt_f32_e64 s[8:9], |v55|, s12
                                        ; implicit-def: $vgpr62
	s_and_saveexec_b64 s[34:35], s[8:9]
	s_xor_b64 s[8:9], exec, s[34:35]
	s_cbranch_execz .LBB23_26
; %bb.25:                               ;   in Loop: Header=BB23_16 Depth=1
	v_add_f32_e64 v59, |v55|, |v55|
	v_mul_f32_e32 v60, 0x3fb8aa3b, v59
	v_rndne_f32_e32 v61, v60
	v_sub_f32_e32 v62, v60, v61
	v_fma_f32 v60, v59, s13, -v60
	v_fmac_f32_e32 v60, 0x32a5705f, v59
	v_add_f32_e32 v60, v62, v60
	v_cvt_i32_f32_e32 v61, v61
	v_exp_f32_e32 v60, v60
	v_cmp_ngt_f32_e32 vcc, s19, v59
	v_ldexp_f32 v60, v60, v61
	v_cndmask_b32_e32 v60, 0, v60, vcc
	v_cmp_nlt_f32_e32 vcc, s24, v59
	v_cndmask_b32_e32 v59, v34, v60, vcc
	v_add_f32_e32 v59, 1.0, v59
	v_rcp_f32_e32 v59, v59
	v_fma_f32 v62, v59, -2.0, 1.0
.LBB23_26:                              ;   in Loop: Header=BB23_16 Depth=1
	s_andn2_saveexec_b64 s[8:9], s[8:9]
; %bb.27:                               ;   in Loop: Header=BB23_16 Depth=1
	v_mul_f32_e32 v59, v55, v55
	v_mov_b32_e32 v60, 0x3ca908c9
	v_fmac_f32_e32 v60, 0xbbbac73d, v59
	v_fma_f32 v60, v59, v60, v31
	v_fma_f32 v60, v59, v60, v32
	;; [unrolled: 1-line block ×3, first 2 shown]
	v_mul_f32_e64 v60, |v55|, v60
	v_fma_f32 v62, v59, v60, |v55|
; %bb.28:                               ;   in Loop: Header=BB23_16 Depth=1
	s_or_b64 exec, exec, s[8:9]
	global_load_ushort v59, v[1:2], off offset:128
	v_cmp_nlt_f32_e64 s[8:9], |v56|, s12
                                        ; implicit-def: $vgpr63
	s_and_saveexec_b64 s[34:35], s[8:9]
	s_xor_b64 s[8:9], exec, s[34:35]
	s_cbranch_execz .LBB23_30
; %bb.29:                               ;   in Loop: Header=BB23_16 Depth=1
	v_add_f32_e64 v60, |v56|, |v56|
	v_mul_f32_e32 v61, 0x3fb8aa3b, v60
	v_rndne_f32_e32 v63, v61
	v_sub_f32_e32 v64, v61, v63
	v_fma_f32 v61, v60, s13, -v61
	v_fmac_f32_e32 v61, 0x32a5705f, v60
	v_add_f32_e32 v61, v64, v61
	v_cvt_i32_f32_e32 v63, v63
	v_exp_f32_e32 v61, v61
	v_cmp_ngt_f32_e32 vcc, s19, v60
	v_ldexp_f32 v61, v61, v63
	v_cndmask_b32_e32 v61, 0, v61, vcc
	v_cmp_nlt_f32_e32 vcc, s24, v60
	v_cndmask_b32_e32 v60, v34, v61, vcc
	v_add_f32_e32 v60, 1.0, v60
	v_rcp_f32_e32 v60, v60
	v_fma_f32 v63, v60, -2.0, 1.0
.LBB23_30:                              ;   in Loop: Header=BB23_16 Depth=1
	s_andn2_saveexec_b64 s[8:9], s[8:9]
; %bb.31:                               ;   in Loop: Header=BB23_16 Depth=1
	v_mul_f32_e32 v60, v56, v56
	v_mov_b32_e32 v61, 0x3ca908c9
	v_fmac_f32_e32 v61, 0xbbbac73d, v60
	v_fma_f32 v61, v60, v61, v31
	v_fma_f32 v61, v60, v61, v32
	;; [unrolled: 1-line block ×3, first 2 shown]
	v_mul_f32_e64 v61, |v56|, v61
	v_fma_f32 v63, v60, v61, |v56|
; %bb.32:                               ;   in Loop: Header=BB23_16 Depth=1
	s_or_b64 exec, exec, s[8:9]
	global_load_ushort v65, v[1:2], off offset:192
	v_bfi_b32 v1, s25, v57, v53
	v_bfi_b32 v2, s25, v58, v54
	s_waitcnt vmcnt(3)
	v_fma_mix_f32 v61, s14, v1, v3 op_sel_hi:[0,0,1]
	s_waitcnt vmcnt(2)
	v_fma_mix_f32 v60, s14, v2, v4 op_sel_hi:[0,0,1]
	v_add_f32_e32 v1, 0x40051340, v61
	v_add_f32_e32 v2, 0x40051340, v60
	v_max3_f32 v54, v50, v1, v2
	v_bfi_b32 v1, s25, v62, v55
	s_waitcnt vmcnt(1)
	v_fma_mix_f32 v2, s14, v1, v59 op_sel_hi:[0,0,1]
	v_and_b32_e32 v1, 0x60, v20
	v_add_u32_e32 v53, 32, v1
	v_xor_b32_e32 v58, 16, v20
	v_cmp_lt_i32_e32 vcc, v58, v53
	v_cndmask_b32_e32 v1, v20, v58, vcc
	v_lshlrev_b32_e32 v62, 2, v1
	v_bfi_b32 v1, s25, v63, v56
	v_add_f32_e32 v55, 0x40051340, v2
	v_cmp_nlt_f32_e64 s[8:9], |v14|, s12
                                        ; implicit-def: $vgpr70
	s_waitcnt vmcnt(0)
	v_fma_mix_f32 v1, s14, v1, v65 op_sel_hi:[0,0,1]
	v_add_f32_e32 v56, 0x40051340, v1
	v_max3_f32 v55, v54, v55, v56
	ds_bpermute_b32 v56, v62, v55
	v_xor_b32_e32 v54, 8, v20
	v_cmp_lt_i32_e32 vcc, v54, v53
	v_cndmask_b32_e32 v57, v20, v54, vcc
	v_lshlrev_b32_e32 v64, 2, v57
	s_waitcnt lgkmcnt(0)
	v_max_f32_e32 v56, v56, v56
	v_max_f32_e32 v56, v55, v56
	ds_bpermute_b32 v57, v64, v56
	v_xor_b32_e32 v55, 4, v20
	v_cmp_lt_i32_e32 vcc, v55, v53
	v_cndmask_b32_e32 v63, v20, v55, vcc
	v_lshlrev_b32_e32 v66, 2, v63
	s_waitcnt lgkmcnt(0)
	v_max_f32_e32 v57, v57, v57
	v_max_f32_e32 v57, v56, v57
	;; [unrolled: 8-line block ×4, first 2 shown]
	ds_bpermute_b32 v69, v63, v68
	s_and_saveexec_b64 s[34:35], s[8:9]
	s_xor_b64 s[8:9], exec, s[34:35]
	s_cbranch_execz .LBB23_34
; %bb.33:                               ;   in Loop: Header=BB23_16 Depth=1
	v_add_f32_e64 v70, |v14|, |v14|
	v_mul_f32_e32 v71, 0x3fb8aa3b, v70
	v_rndne_f32_e32 v72, v71
	v_sub_f32_e32 v73, v71, v72
	v_fma_f32 v71, v70, s13, -v71
	v_fmac_f32_e32 v71, 0x32a5705f, v70
	v_add_f32_e32 v71, v73, v71
	v_cvt_i32_f32_e32 v72, v72
	v_exp_f32_e32 v71, v71
	v_cmp_ngt_f32_e32 vcc, s19, v70
	v_ldexp_f32 v71, v71, v72
	v_cndmask_b32_e32 v71, 0, v71, vcc
	v_cmp_nlt_f32_e32 vcc, s24, v70
	v_cndmask_b32_e32 v70, v34, v71, vcc
	v_add_f32_e32 v70, 1.0, v70
	v_rcp_f32_e32 v70, v70
	v_fma_f32 v70, v70, -2.0, 1.0
.LBB23_34:                              ;   in Loop: Header=BB23_16 Depth=1
	s_andn2_saveexec_b64 s[8:9], s[8:9]
; %bb.35:                               ;   in Loop: Header=BB23_16 Depth=1
	v_mul_f32_e32 v70, v14, v14
	v_mov_b32_e32 v71, 0x3ca908c9
	v_fmac_f32_e32 v71, 0xbbbac73d, v70
	v_fma_f32 v71, v70, v71, v31
	v_fma_f32 v71, v70, v71, v32
	;; [unrolled: 1-line block ×3, first 2 shown]
	v_mul_f32_e64 v71, |v14|, v71
	v_fma_f32 v70, v70, v71, |v14|
; %bb.36:                               ;   in Loop: Header=BB23_16 Depth=1
	s_or_b64 exec, exec, s[8:9]
	v_cmp_nlt_f32_e64 s[8:9], |v15|, s12
                                        ; implicit-def: $vgpr71
	s_and_saveexec_b64 s[34:35], s[8:9]
	s_xor_b64 s[8:9], exec, s[34:35]
	s_cbranch_execz .LBB23_38
; %bb.37:                               ;   in Loop: Header=BB23_16 Depth=1
	v_add_f32_e64 v71, |v15|, |v15|
	v_mul_f32_e32 v72, 0x3fb8aa3b, v71
	v_rndne_f32_e32 v73, v72
	v_sub_f32_e32 v74, v72, v73
	v_fma_f32 v72, v71, s13, -v72
	v_fmac_f32_e32 v72, 0x32a5705f, v71
	v_add_f32_e32 v72, v74, v72
	v_cvt_i32_f32_e32 v73, v73
	v_exp_f32_e32 v72, v72
	v_cmp_ngt_f32_e32 vcc, s19, v71
	v_ldexp_f32 v72, v72, v73
	v_cndmask_b32_e32 v72, 0, v72, vcc
	v_cmp_nlt_f32_e32 vcc, s24, v71
	v_cndmask_b32_e32 v71, v34, v72, vcc
	v_add_f32_e32 v71, 1.0, v71
	v_rcp_f32_e32 v71, v71
	v_fma_f32 v71, v71, -2.0, 1.0
.LBB23_38:                              ;   in Loop: Header=BB23_16 Depth=1
	s_andn2_saveexec_b64 s[8:9], s[8:9]
; %bb.39:                               ;   in Loop: Header=BB23_16 Depth=1
	v_mul_f32_e32 v71, v15, v15
	v_mov_b32_e32 v72, 0x3ca908c9
	v_fmac_f32_e32 v72, 0xbbbac73d, v71
	v_fma_f32 v72, v71, v72, v31
	v_fma_f32 v72, v71, v72, v32
	;; [unrolled: 1-line block ×3, first 2 shown]
	v_mul_f32_e64 v72, |v15|, v72
	v_fma_f32 v71, v71, v72, |v15|
; %bb.40:                               ;   in Loop: Header=BB23_16 Depth=1
	s_or_b64 exec, exec, s[8:9]
	v_cmp_nlt_f32_e64 s[8:9], |v51|, s12
                                        ; implicit-def: $vgpr72
	s_and_saveexec_b64 s[34:35], s[8:9]
	s_xor_b64 s[8:9], exec, s[34:35]
	s_cbranch_execz .LBB23_42
; %bb.41:                               ;   in Loop: Header=BB23_16 Depth=1
	v_add_f32_e64 v72, |v51|, |v51|
	v_mul_f32_e32 v73, 0x3fb8aa3b, v72
	v_rndne_f32_e32 v74, v73
	v_sub_f32_e32 v75, v73, v74
	v_fma_f32 v73, v72, s13, -v73
	v_fmac_f32_e32 v73, 0x32a5705f, v72
	v_add_f32_e32 v73, v75, v73
	v_cvt_i32_f32_e32 v74, v74
	v_exp_f32_e32 v73, v73
	v_cmp_ngt_f32_e32 vcc, s19, v72
	v_ldexp_f32 v73, v73, v74
	v_cndmask_b32_e32 v73, 0, v73, vcc
	v_cmp_nlt_f32_e32 vcc, s24, v72
	v_cndmask_b32_e32 v72, v34, v73, vcc
	v_add_f32_e32 v72, 1.0, v72
	v_rcp_f32_e32 v72, v72
	v_fma_f32 v72, v72, -2.0, 1.0
.LBB23_42:                              ;   in Loop: Header=BB23_16 Depth=1
	s_andn2_saveexec_b64 s[8:9], s[8:9]
; %bb.43:                               ;   in Loop: Header=BB23_16 Depth=1
	v_mul_f32_e32 v72, v51, v51
	v_mov_b32_e32 v73, 0x3ca908c9
	v_fmac_f32_e32 v73, 0xbbbac73d, v72
	v_fma_f32 v73, v72, v73, v31
	v_fma_f32 v73, v72, v73, v32
	;; [unrolled: 1-line block ×3, first 2 shown]
	v_mul_f32_e64 v73, |v51|, v73
	v_fma_f32 v72, v72, v73, |v51|
; %bb.44:                               ;   in Loop: Header=BB23_16 Depth=1
	s_or_b64 exec, exec, s[8:9]
	v_cmp_nlt_f32_e64 s[8:9], |v52|, s12
                                        ; implicit-def: $vgpr73
	s_and_saveexec_b64 s[34:35], s[8:9]
	s_xor_b64 s[8:9], exec, s[34:35]
	s_cbranch_execz .LBB23_46
; %bb.45:                               ;   in Loop: Header=BB23_16 Depth=1
	v_add_f32_e64 v73, |v52|, |v52|
	v_mul_f32_e32 v74, 0x3fb8aa3b, v73
	v_rndne_f32_e32 v75, v74
	v_sub_f32_e32 v76, v74, v75
	v_fma_f32 v74, v73, s13, -v74
	v_fmac_f32_e32 v74, 0x32a5705f, v73
	v_add_f32_e32 v74, v76, v74
	v_cvt_i32_f32_e32 v75, v75
	v_exp_f32_e32 v74, v74
	v_cmp_ngt_f32_e32 vcc, s19, v73
	v_ldexp_f32 v74, v74, v75
	v_cndmask_b32_e32 v74, 0, v74, vcc
	v_cmp_nlt_f32_e32 vcc, s24, v73
	v_cndmask_b32_e32 v73, v34, v74, vcc
	v_add_f32_e32 v73, 1.0, v73
	v_rcp_f32_e32 v73, v73
	v_fma_f32 v73, v73, -2.0, 1.0
.LBB23_46:                              ;   in Loop: Header=BB23_16 Depth=1
	s_andn2_saveexec_b64 s[8:9], s[8:9]
; %bb.47:                               ;   in Loop: Header=BB23_16 Depth=1
	v_mul_f32_e32 v73, v52, v52
	v_mov_b32_e32 v74, 0x3ca908c9
	v_fmac_f32_e32 v74, 0xbbbac73d, v73
	v_fma_f32 v74, v73, v74, v31
	v_fma_f32 v74, v73, v74, v32
	;; [unrolled: 1-line block ×3, first 2 shown]
	v_mul_f32_e64 v74, |v52|, v74
	v_fma_f32 v73, v73, v74, |v52|
; %bb.48:                               ;   in Loop: Header=BB23_16 Depth=1
	s_or_b64 exec, exec, s[8:9]
	v_cvt_f32_f16_e32 v74, v3
	v_cvt_f32_f16_e32 v75, v4
	;; [unrolled: 1-line block ×4, first 2 shown]
	v_bfi_b32 v14, s25, v70, v14
	v_bfi_b32 v15, s25, v71, v15
	v_fmac_f32_e32 v74, s14, v14
	v_fmac_f32_e32 v75, s14, v15
	v_add_f32_e32 v14, 0x40051340, v74
	v_add_f32_e32 v15, 0x40051340, v75
	v_max3_f32 v14, v48, v14, v15
	v_bfi_b32 v15, s25, v72, v51
	v_bfi_b32 v51, s25, v73, v52
	v_fmac_f32_e32 v4, s14, v15
	v_fmac_f32_e32 v3, s14, v51
	v_add_f32_e32 v15, 0x40051340, v4
	v_add_f32_e32 v51, 0x40051340, v3
	v_max3_f32 v14, v14, v15, v51
	ds_bpermute_b32 v15, v62, v14
	s_waitcnt lgkmcnt(1)
	v_max_f32_e32 v51, v69, v69
	v_max_f32_e32 v52, v68, v68
	s_mul_hi_i32 s9, s6, s15
	s_mul_i32 s8, s6, s15
	s_waitcnt lgkmcnt(0)
	v_max_f32_e32 v15, v15, v15
	v_max_f32_e32 v14, v14, v15
	ds_bpermute_b32 v15, v64, v14
	s_lshl_b64 s[8:9], s[8:9], 2
	s_waitcnt lgkmcnt(0)
	s_barrier
	v_max_f32_e32 v15, v15, v15
	v_max_f32_e32 v14, v14, v15
	ds_bpermute_b32 v15, v66, v14
	s_waitcnt lgkmcnt(0)
	v_max_f32_e32 v15, v15, v15
	v_max_f32_e32 v15, v14, v15
	ds_bpermute_b32 v59, v67, v15
	v_max_f32_e32 v14, v52, v51
	v_sub_f32_e32 v51, v61, v14
	v_mul_f32_e32 v52, 0x3fb8aa3b, v51
	v_fma_f32 v61, v51, s13, -v52
	s_waitcnt lgkmcnt(0)
	v_max_f32_e32 v59, v59, v59
	v_max_f32_e32 v15, v15, v59
	ds_bpermute_b32 v59, v63, v15
	v_rndne_f32_e32 v62, v52
	v_fmac_f32_e32 v61, 0x32a5705f, v51
	v_sub_f32_e32 v52, v52, v62
	v_add_f32_e32 v52, v52, v61
	s_waitcnt lgkmcnt(0)
	v_max_f32_e32 v59, v59, v59
	v_max_f32_e32 v15, v15, v59
	v_exp_f32_e32 v52, v52
	v_cvt_i32_f32_e32 v59, v62
	v_sub_f32_e32 v61, v50, v14
	v_sub_f32_e32 v2, v2, v14
	v_cmp_ngt_f32_e32 vcc, s19, v51
	v_ldexp_f32 v50, v52, v59
	v_sub_f32_e32 v52, v60, v14
	v_mul_f32_e32 v59, 0x3fb8aa3b, v52
	v_fma_f32 v60, v52, s13, -v59
	v_rndne_f32_e32 v62, v59
	v_fmac_f32_e32 v60, 0x32a5705f, v52
	v_sub_f32_e32 v59, v59, v62
	v_add_f32_e32 v59, v59, v60
	v_exp_f32_e32 v59, v59
	v_cvt_i32_f32_e32 v60, v62
	v_cndmask_b32_e32 v50, 0, v50, vcc
	v_cmp_nlt_f32_e32 vcc, s24, v51
	v_cndmask_b32_e32 v51, v34, v50, vcc
	v_ldexp_f32 v59, v59, v60
	v_mul_f32_e32 v60, 0x3fb8aa3b, v2
	v_fma_f32 v62, v2, s13, -v60
	v_rndne_f32_e32 v63, v60
	v_fmac_f32_e32 v62, 0x32a5705f, v2
	v_sub_f32_e32 v60, v60, v63
	v_add_f32_e32 v60, v60, v62
	v_exp_f32_e32 v60, v60
	v_cvt_i32_f32_e32 v62, v63
	v_cmp_ngt_f32_e32 vcc, s19, v52
	v_cndmask_b32_e32 v59, 0, v59, vcc
	v_cmp_nlt_f32_e32 vcc, s24, v52
	v_sub_f32_e32 v1, v1, v14
	v_cndmask_b32_e32 v52, v34, v59, vcc
	v_mul_f32_e32 v59, 0x3fb8aa3b, v1
	v_cvt_f16_f32_e32 v50, v51
	v_add_f32_e32 v51, v51, v52
	v_cvt_f16_f32_e32 v63, v52
	v_ldexp_f32 v52, v60, v62
	v_fma_f32 v60, v1, s13, -v59
	v_rndne_f32_e32 v62, v59
	v_fmac_f32_e32 v60, 0x32a5705f, v1
	v_sub_f32_e32 v59, v59, v62
	v_add_f32_e32 v59, v59, v60
	v_exp_f32_e32 v59, v59
	v_cvt_i32_f32_e32 v60, v62
	v_cmp_ngt_f32_e32 vcc, s19, v2
	v_cndmask_b32_e32 v52, 0, v52, vcc
	v_cmp_nlt_f32_e32 vcc, s24, v2
	v_cndmask_b32_e32 v2, v34, v52, vcc
	v_mul_f32_e32 v52, 0x3fb8aa3b, v61
	v_add_f32_e32 v51, v2, v51
	v_cvt_f16_f32_e32 v64, v2
	v_ldexp_f32 v2, v59, v60
	v_fma_f32 v59, v61, s13, -v52
	v_rndne_f32_e32 v60, v52
	v_fmac_f32_e32 v59, 0x32a5705f, v61
	v_sub_f32_e32 v52, v52, v60
	v_add_f32_e32 v52, v52, v59
	v_exp_f32_e32 v52, v52
	v_cvt_i32_f32_e32 v59, v60
	v_cmp_ngt_f32_e32 vcc, s19, v1
	v_cndmask_b32_e32 v2, 0, v2, vcc
	v_cmp_nlt_f32_e32 vcc, s24, v1
	v_cndmask_b32_e32 v1, v34, v2, vcc
	v_ldexp_f32 v2, v52, v59
	v_cmp_ngt_f32_e32 vcc, s19, v61
	v_cndmask_b32_e32 v2, 0, v2, vcc
	v_cmp_nlt_f32_e32 vcc, s24, v61
	v_cndmask_b32_e32 v2, v34, v2, vcc
	v_cvt_f16_f32_e32 v52, v2
	v_add_f32_e32 v51, v1, v51
	v_fmac_f32_e32 v51, v49, v2
	v_cvt_f16_f32_e32 v65, v1
	v_mul_u32_u24_e32 v49, 0x10001, v52
	v_pk_mul_f16 v68, v44, v49
	v_sub_f32_e32 v44, v74, v15
	v_mul_f32_e32 v1, 0x3fb8aa3b, v44
	v_pk_mul_f16 v70, v42, v49
	v_fma_f32 v2, v44, s13, -v1
	v_rndne_f32_e32 v42, v1
	v_fmac_f32_e32 v2, 0x32a5705f, v44
	v_sub_f32_e32 v1, v1, v42
	v_add_f32_e32 v1, v1, v2
	v_exp_f32_e32 v1, v1
	v_cvt_i32_f32_e32 v2, v42
	v_cmp_ngt_f32_e32 vcc, s19, v44
	v_pk_mul_f16 v67, v46, v49
	v_pk_mul_f16 v71, v43, v49
	v_ldexp_f32 v1, v1, v2
	v_cndmask_b32_e32 v46, 0, v1, vcc
	v_mov_b32_e32 v2, s9
	v_add_co_u32_e32 v1, vcc, s8, v28
	v_addc_co_u32_e32 v2, vcc, v29, v2, vcc
	v_pk_mul_f16 v72, v40, v49
	v_pk_mul_f16 v73, v41, v49
	global_load_dwordx4 v[40:43], v[1:2], off
	global_load_dwordx4 v[59:62], v[1:2], off offset:512
	v_pk_mul_f16 v69, v45, v49
	v_sub_f32_e32 v45, v48, v15
	v_sub_f32_e32 v48, v75, v15
	v_mul_f32_e32 v52, 0x3fb8aa3b, v48
	v_fma_f32 v66, v48, s13, -v52
	v_rndne_f32_e32 v1, v52
	v_fmac_f32_e32 v66, 0x32a5705f, v48
	v_sub_f32_e32 v2, v52, v1
	v_add_f32_e32 v2, v2, v66
	v_exp_f32_e32 v2, v2
	v_cvt_i32_f32_e32 v1, v1
	v_cmp_nlt_f32_e32 vcc, s24, v44
	v_cndmask_b32_e32 v44, v34, v46, vcc
	v_cmp_ngt_f32_e32 vcc, s19, v48
	v_ldexp_f32 v1, v2, v1
	v_sub_f32_e32 v2, v4, v15
	v_mul_f32_e32 v4, 0x3fb8aa3b, v2
	v_fma_f32 v52, v2, s13, -v4
	v_rndne_f32_e32 v66, v4
	v_fmac_f32_e32 v52, 0x32a5705f, v2
	v_sub_f32_e32 v4, v4, v66
	v_add_f32_e32 v4, v4, v52
	v_exp_f32_e32 v4, v4
	v_cvt_i32_f32_e32 v52, v66
	v_sub_f32_e32 v3, v3, v15
	v_cndmask_b32_e32 v1, 0, v1, vcc
	v_cmp_nlt_f32_e32 vcc, s24, v48
	v_mul_f32_e32 v48, 0x3fb8aa3b, v3
	v_ldexp_f32 v4, v4, v52
	v_fma_f32 v52, v3, s13, -v48
	v_rndne_f32_e32 v66, v48
	v_fmac_f32_e32 v52, 0x32a5705f, v3
	v_sub_f32_e32 v48, v48, v66
	v_add_f32_e32 v48, v48, v52
	v_exp_f32_e32 v48, v48
	v_cvt_i32_f32_e32 v52, v66
	v_cndmask_b32_e32 v1, v34, v1, vcc
	v_cmp_ngt_f32_e32 vcc, s19, v2
	v_cndmask_b32_e32 v4, 0, v4, vcc
	v_cmp_nlt_f32_e32 vcc, s24, v2
	v_cvt_f16_f32_e32 v46, v44
	v_add_f32_e32 v44, v44, v1
	v_cndmask_b32_e32 v2, v34, v4, vcc
	v_add_f32_e32 v4, v2, v44
	v_ldexp_f32 v44, v48, v52
	v_mul_f32_e32 v48, 0x3fb8aa3b, v45
	v_fma_f32 v52, v45, s13, -v48
	v_rndne_f32_e32 v66, v48
	v_fmac_f32_e32 v52, 0x32a5705f, v45
	v_sub_f32_e32 v48, v48, v66
	v_add_f32_e32 v48, v48, v52
	v_exp_f32_e32 v48, v48
	v_cvt_i32_f32_e32 v52, v66
	v_cmp_ngt_f32_e32 vcc, s19, v3
	v_cndmask_b32_e32 v44, 0, v44, vcc
	v_cmp_nlt_f32_e32 vcc, s24, v3
	v_cndmask_b32_e32 v3, v34, v44, vcc
	v_ldexp_f32 v44, v48, v52
	v_cmp_ngt_f32_e32 vcc, s19, v45
	v_cndmask_b32_e32 v44, 0, v44, vcc
	v_cmp_nlt_f32_e32 vcc, s24, v45
	v_cndmask_b32_e32 v44, v34, v44, vcc
	v_cvt_f16_f32_e32 v45, v44
	v_cvt_f16_f32_e32 v1, v1
	;; [unrolled: 1-line block ×3, first 2 shown]
	v_add_f32_e32 v52, v3, v4
	v_cvt_f16_f32_e32 v3, v3
	v_mul_u32_u24_e32 v48, 0x10001, v45
	v_pk_mul_f16 v77, v5, v48
	v_add_u32_e32 v4, v24, v18
	v_pack_b32_f16 v5, v50, v46
	v_pack_b32_f16 v1, v63, v1
	ds_write2_b32 v4, v5, v1 offset1:32
	v_pack_b32_f16 v1, v64, v2
	v_pack_b32_f16 v2, v65, v3
	v_fmac_f32_e32 v52, v47, v44
	v_pk_mul_f16 v74, v7, v48
	v_pk_mul_f16 v75, v8, v48
	;; [unrolled: 1-line block ×3, first 2 shown]
	ds_write2_b32 v4, v1, v2 offset0:64 offset1:96
	s_waitcnt vmcnt(1)
	ds_write_b128 v25, v[40:43]
	s_waitcnt vmcnt(0)
	ds_write_b128 v26, v[59:62]
	s_waitcnt lgkmcnt(0)
	s_barrier
	ds_read2_b64 v[40:43], v27 offset1:32
	ds_read_b128 v[44:47], v24
	ds_read2_b64 v[59:62], v27 offset0:64 offset1:96
	ds_read_b128 v[63:66], v24 offset:16
	ds_read_b128 v[5:8], v24 offset:32
	;; [unrolled: 1-line block ×3, first 2 shown]
	s_waitcnt lgkmcnt(4)
	v_mul_u32_u24_sdwa v50, v44, s26 dst_sel:DWORD dst_unused:UNUSED_PAD src0_sel:WORD_0 src1_sel:DWORD
	v_mul_u32_u24_sdwa v44, v44, s26 dst_sel:DWORD dst_unused:UNUSED_PAD src0_sel:WORD_1 src1_sel:DWORD
	v_pk_mul_f16 v78, v40, v50
	v_pk_mul_f16 v38, v38, v48
	;; [unrolled: 1-line block ×4, first 2 shown]
	v_pk_fma_f16 v49, v39, v49, v78
	v_pk_mul_f16 v39, v40, v44
	v_pk_fma_f16 v48, v35, v48, v39
	v_pk_fma_f16 v78, v41, v44, v38
	;; [unrolled: 1-line block ×5, first 2 shown]
	ds_read2_b64 v[35:38], v27 offset0:128 offset1:160
	v_pk_fma_f16 v67, v41, v50, v67
	v_pk_fma_f16 v68, v42, v50, v68
	ds_read2_b64 v[39:42], v27 offset0:192 offset1:224
	s_waitcnt lgkmcnt(5)
	v_pk_fma_f16 v70, v59, v50, v70
	v_pk_fma_f16 v59, v59, v44, v74
	v_pk_fma_f16 v71, v60, v50, v71
	v_pk_fma_f16 v60, v60, v44, v75
	v_pk_fma_f16 v72, v61, v50, v72
	v_pk_fma_f16 v61, v61, v44, v76
	v_pk_fma_f16 v50, v62, v50, v73
	v_pk_fma_f16 v44, v62, v44, v77
	v_mul_u32_u24_sdwa v62, v45, s26 dst_sel:DWORD dst_unused:UNUSED_PAD src0_sel:WORD_0 src1_sel:DWORD
	v_mul_u32_u24_sdwa v45, v45, s26 dst_sel:DWORD dst_unused:UNUSED_PAD src0_sel:WORD_1 src1_sel:DWORD
	s_waitcnt lgkmcnt(1)
	v_pk_fma_f16 v49, v35, v62, v49
	v_pk_fma_f16 v48, v35, v45, v48
	v_add_u32_e32 v35, 0x800, v27
	v_pk_fma_f16 v67, v36, v62, v67
	v_pk_fma_f16 v73, v36, v45, v78
	v_pk_fma_f16 v68, v37, v62, v68
	v_pk_fma_f16 v74, v37, v45, v79
	v_pk_fma_f16 v69, v38, v62, v69
	v_pk_fma_f16 v75, v38, v45, v43
	s_waitcnt lgkmcnt(0)
	v_pk_fma_f16 v70, v39, v62, v70
	v_pk_fma_f16 v59, v39, v45, v59
	ds_read2_b64 v[36:39], v35 offset1:32
	v_pk_fma_f16 v71, v40, v62, v71
	v_pk_fma_f16 v60, v40, v45, v60
	v_pk_fma_f16 v72, v41, v62, v72
	v_pk_fma_f16 v61, v41, v45, v61
	v_pk_fma_f16 v50, v42, v62, v50
	v_pk_fma_f16 v44, v42, v45, v44
	ds_read2_b64 v[40:43], v35 offset0:64 offset1:96
	v_mul_u32_u24_sdwa v45, v46, s26 dst_sel:DWORD dst_unused:UNUSED_PAD src0_sel:WORD_0 src1_sel:DWORD
	v_mul_u32_u24_sdwa v46, v46, s26 dst_sel:DWORD dst_unused:UNUSED_PAD src0_sel:WORD_1 src1_sel:DWORD
	s_waitcnt lgkmcnt(1)
	v_pk_fma_f16 v49, v36, v45, v49
	v_pk_fma_f16 v48, v36, v46, v48
	v_pk_fma_f16 v62, v37, v45, v67
	v_pk_fma_f16 v67, v37, v46, v73
	v_pk_fma_f16 v68, v38, v45, v68
	v_pk_fma_f16 v73, v38, v46, v74
	v_pk_fma_f16 v69, v39, v45, v69
	v_pk_fma_f16 v74, v39, v46, v75
	ds_read2_b64 v[36:39], v35 offset0:128 offset1:160
	s_waitcnt lgkmcnt(1)
	v_pk_fma_f16 v70, v40, v45, v70
	v_pk_fma_f16 v59, v40, v46, v59
	v_pk_fma_f16 v71, v41, v45, v71
	v_pk_fma_f16 v60, v41, v46, v60
	v_pk_fma_f16 v72, v42, v45, v72
	v_pk_fma_f16 v61, v42, v46, v61
	v_pk_fma_f16 v45, v43, v45, v50
	v_pk_fma_f16 v44, v43, v46, v44
	ds_read2_b64 v[40:43], v35 offset0:192 offset1:224
	v_mul_u32_u24_sdwa v46, v47, s26 dst_sel:DWORD dst_unused:UNUSED_PAD src0_sel:WORD_0 src1_sel:DWORD
	v_mul_u32_u24_sdwa v47, v47, s26 dst_sel:DWORD dst_unused:UNUSED_PAD src0_sel:WORD_1 src1_sel:DWORD
	s_waitcnt lgkmcnt(1)
	v_pk_fma_f16 v49, v36, v46, v49
	v_pk_fma_f16 v48, v36, v47, v48
	v_add_u32_e32 v36, 0x1000, v27
	v_pk_fma_f16 v50, v37, v46, v62
	v_pk_fma_f16 v62, v37, v47, v67
	v_pk_fma_f16 v67, v38, v46, v68
	v_pk_fma_f16 v68, v38, v47, v73
	v_pk_fma_f16 v69, v39, v46, v69
	v_pk_fma_f16 v73, v39, v47, v74
	s_waitcnt lgkmcnt(0)
	v_pk_fma_f16 v70, v40, v46, v70
	v_pk_fma_f16 v59, v40, v47, v59
	ds_read2_b64 v[37:40], v36 offset1:32
	v_pk_fma_f16 v71, v41, v46, v71
	v_pk_fma_f16 v60, v41, v47, v60
	v_pk_fma_f16 v72, v42, v46, v72
	v_pk_fma_f16 v61, v42, v47, v61
	v_pk_fma_f16 v45, v43, v46, v45
	v_pk_fma_f16 v46, v43, v47, v44
	ds_read2_b64 v[41:44], v36 offset0:64 offset1:96
	v_mul_u32_u24_sdwa v47, v63, s26 dst_sel:DWORD dst_unused:UNUSED_PAD src0_sel:WORD_0 src1_sel:DWORD
	v_mul_u32_u24_sdwa v63, v63, s26 dst_sel:DWORD dst_unused:UNUSED_PAD src0_sel:WORD_1 src1_sel:DWORD
	s_waitcnt lgkmcnt(1)
	v_pk_fma_f16 v49, v37, v47, v49
	v_pk_fma_f16 v48, v37, v63, v48
	v_pk_fma_f16 v50, v38, v47, v50
	v_pk_fma_f16 v62, v38, v63, v62
	v_pk_fma_f16 v67, v39, v47, v67
	v_pk_fma_f16 v68, v39, v63, v68
	v_pk_fma_f16 v69, v40, v47, v69
	v_pk_fma_f16 v73, v40, v63, v73
	ds_read2_b64 v[37:40], v36 offset0:128 offset1:160
	s_waitcnt lgkmcnt(1)
	v_pk_fma_f16 v70, v41, v47, v70
	v_pk_fma_f16 v59, v41, v63, v59
	v_pk_fma_f16 v71, v42, v47, v71
	v_pk_fma_f16 v60, v42, v63, v60
	v_pk_fma_f16 v72, v43, v47, v72
	v_pk_fma_f16 v61, v43, v63, v61
	v_pk_fma_f16 v45, v44, v47, v45
	v_pk_fma_f16 v46, v44, v63, v46
	ds_read2_b64 v[41:44], v36 offset0:192 offset1:224
	;; [unrolled: 45-line block ×5, first 2 shown]
	s_or_b32 s8, s6, 16
	s_mul_hi_i32 s9, s8, s15
	s_mul_i32 s8, s8, s15
	v_mul_u32_u24_sdwa v101, v8, s26 dst_sel:DWORD dst_unused:UNUSED_PAD src0_sel:WORD_0 src1_sel:DWORD
	v_mul_u32_u24_sdwa v102, v8, s26 dst_sel:DWORD dst_unused:UNUSED_PAD src0_sel:WORD_1 src1_sel:DWORD
	s_lshl_b64 s[8:9], s[8:9], 2
	s_waitcnt lgkmcnt(1)
	v_pk_fma_f16 v104, v42, v101, v64
	v_pk_fma_f16 v105, v42, v102, v65
	;; [unrolled: 1-line block ×4, first 2 shown]
	v_mov_b32_e32 v43, s9
	v_add_co_u32_e32 v42, vcc, s8, v28
	v_pk_fma_f16 v49, v40, v101, v49
	v_pk_fma_f16 v48, v40, v102, v48
	;; [unrolled: 1-line block ×4, first 2 shown]
	v_add_u32_e32 v41, 0x3000, v27
	v_add_u32_e32 v40, 0x3800, v27
	v_addc_co_u32_e32 v43, vcc, v29, v43, vcc
	s_waitcnt lgkmcnt(0)
	v_pk_fma_f16 v108, v44, v101, v68
	v_pk_fma_f16 v44, v44, v102, v59
	ds_read2_b64 v[5:8], v41 offset1:32
	ds_read2_b64 v[59:62], v41 offset0:64 offset1:96
	ds_read2_b64 v[63:66], v41 offset0:128 offset1:160
	;; [unrolled: 1-line block ×3, first 2 shown]
	ds_read2_b64 v[71:74], v40 offset1:32
	ds_read2_b64 v[75:78], v40 offset0:64 offset1:96
	ds_read2_b64 v[79:82], v40 offset0:128 offset1:160
	;; [unrolled: 1-line block ×3, first 2 shown]
	s_waitcnt lgkmcnt(0)
	s_barrier
	global_load_dwordx4 v[87:90], v[42:43], off
	global_load_dwordx4 v[91:94], v[42:43], off offset:512
	v_pk_fma_f16 v42, v45, v101, v95
	v_pk_fma_f16 v43, v45, v102, v96
	v_pk_fma_f16 v45, v46, v101, v97
	v_pk_fma_f16 v46, v46, v102, v98
	v_pk_fma_f16 v95, v47, v101, v99
	v_pk_fma_f16 v47, v47, v102, v100
	v_mul_u32_u24_sdwa v96, v1, s26 dst_sel:DWORD dst_unused:UNUSED_PAD src0_sel:WORD_0 src1_sel:DWORD
	v_mul_u32_u24_sdwa v1, v1, s26 dst_sel:DWORD dst_unused:UNUSED_PAD src0_sel:WORD_1 src1_sel:DWORD
	v_pk_fma_f16 v49, v5, v96, v49
	v_pk_fma_f16 v5, v5, v1, v48
	v_pk_fma_f16 v48, v6, v96, v50
	v_pk_fma_f16 v6, v6, v1, v103
	v_pk_fma_f16 v50, v7, v96, v104
	v_pk_fma_f16 v7, v7, v1, v105
	v_pk_fma_f16 v97, v8, v96, v106
	v_pk_fma_f16 v8, v8, v1, v107
	v_pk_fma_f16 v98, v59, v96, v108
	v_pk_fma_f16 v44, v59, v1, v44
	v_pk_fma_f16 v42, v60, v96, v42
	v_pk_fma_f16 v43, v60, v1, v43
	v_pk_fma_f16 v45, v61, v96, v45
	v_pk_fma_f16 v46, v61, v1, v46
	v_pk_fma_f16 v59, v62, v96, v95
	v_pk_fma_f16 v1, v62, v1, v47
	v_mul_u32_u24_sdwa v47, v2, s26 dst_sel:DWORD dst_unused:UNUSED_PAD src0_sel:WORD_0 src1_sel:DWORD
	v_mul_u32_u24_sdwa v2, v2, s26 dst_sel:DWORD dst_unused:UNUSED_PAD src0_sel:WORD_1 src1_sel:DWORD
	v_pk_fma_f16 v49, v63, v47, v49
	v_pk_fma_f16 v5, v63, v2, v5
	v_pk_fma_f16 v48, v64, v47, v48
	v_pk_fma_f16 v6, v64, v2, v6
	v_pk_fma_f16 v50, v65, v47, v50
	v_pk_fma_f16 v7, v65, v2, v7
	v_pk_fma_f16 v60, v66, v47, v97
	v_pk_fma_f16 v8, v66, v2, v8
	v_pk_fma_f16 v61, v67, v47, v98
	v_pk_fma_f16 v44, v67, v2, v44
	;; [unrolled: 18-line block ×4, first 2 shown]
	v_pk_fma_f16 v76, v84, v3, v42
	v_pk_fma_f16 v77, v84, v4, v43
	;; [unrolled: 1-line block ×6, first 2 shown]
	s_waitcnt vmcnt(1)
	ds_write_b128 v25, v[87:90]
	s_waitcnt vmcnt(0)
	ds_write_b128 v26, v[91:94]
	s_waitcnt lgkmcnt(0)
	s_barrier
	ds_read2_b64 v[42:45], v27 offset1:32
	ds_read_b128 v[46:49], v24 offset:64
	ds_read2_b64 v[59:62], v27 offset0:64 offset1:96
	ds_read_b128 v[63:66], v24 offset:80
	ds_read_b128 v[5:8], v24 offset:96
	ds_read_b128 v[1:4], v24 offset:112
	s_waitcnt lgkmcnt(4)
	v_mul_u32_u24_sdwa v82, v46, s26 dst_sel:DWORD dst_unused:UNUSED_PAD src0_sel:WORD_0 src1_sel:DWORD
	v_mul_u32_u24_sdwa v46, v46, s26 dst_sel:DWORD dst_unused:UNUSED_PAD src0_sel:WORD_1 src1_sel:DWORD
	v_pk_fma_f16 v67, v42, v82, v67
	v_pk_fma_f16 v68, v42, v46, v68
	v_pk_fma_f16 v69, v43, v82, v69
	v_pk_fma_f16 v70, v43, v46, v70
	v_pk_fma_f16 v50, v44, v82, v50
	v_pk_fma_f16 v71, v44, v46, v71
	v_pk_fma_f16 v72, v45, v82, v72
	v_pk_fma_f16 v73, v45, v46, v73
	s_waitcnt lgkmcnt(3)
	v_pk_fma_f16 v74, v59, v82, v74
	v_pk_fma_f16 v75, v59, v46, v75
	v_pk_fma_f16 v76, v60, v82, v76
	v_pk_fma_f16 v77, v60, v46, v77
	v_pk_fma_f16 v78, v61, v82, v78
	v_pk_fma_f16 v79, v61, v46, v79
	v_pk_fma_f16 v80, v62, v82, v80
	ds_read2_b64 v[42:45], v27 offset0:128 offset1:160
	v_pk_fma_f16 v46, v62, v46, v81
	ds_read2_b64 v[59:62], v27 offset0:192 offset1:224
	v_mul_u32_u24_sdwa v81, v47, s26 dst_sel:DWORD dst_unused:UNUSED_PAD src0_sel:WORD_0 src1_sel:DWORD
	v_mul_u32_u24_sdwa v47, v47, s26 dst_sel:DWORD dst_unused:UNUSED_PAD src0_sel:WORD_1 src1_sel:DWORD
	s_waitcnt lgkmcnt(1)
	v_pk_fma_f16 v67, v42, v81, v67
	v_pk_fma_f16 v68, v42, v47, v68
	v_pk_fma_f16 v69, v43, v81, v69
	v_pk_fma_f16 v70, v43, v47, v70
	v_pk_fma_f16 v50, v44, v81, v50
	v_pk_fma_f16 v71, v44, v47, v71
	v_pk_fma_f16 v72, v45, v81, v72
	v_pk_fma_f16 v73, v45, v47, v73
	s_waitcnt lgkmcnt(0)
	v_pk_fma_f16 v74, v59, v81, v74
	v_pk_fma_f16 v75, v59, v47, v75
	v_pk_fma_f16 v76, v60, v81, v76
	v_pk_fma_f16 v77, v60, v47, v77
	v_pk_fma_f16 v78, v61, v81, v78
	v_pk_fma_f16 v79, v61, v47, v79
	v_pk_fma_f16 v80, v62, v81, v80
	ds_read2_b64 v[42:45], v35 offset1:32
	v_pk_fma_f16 v46, v62, v47, v46
	ds_read2_b64 v[59:62], v35 offset0:64 offset1:96
	v_mul_u32_u24_sdwa v47, v48, s26 dst_sel:DWORD dst_unused:UNUSED_PAD src0_sel:WORD_0 src1_sel:DWORD
	v_mul_u32_u24_sdwa v48, v48, s26 dst_sel:DWORD dst_unused:UNUSED_PAD src0_sel:WORD_1 src1_sel:DWORD
	s_waitcnt lgkmcnt(1)
	v_pk_fma_f16 v67, v42, v47, v67
	v_pk_fma_f16 v68, v42, v48, v68
	v_pk_fma_f16 v69, v43, v47, v69
	v_pk_fma_f16 v70, v43, v48, v70
	v_pk_fma_f16 v50, v44, v47, v50
	v_pk_fma_f16 v71, v44, v48, v71
	v_pk_fma_f16 v72, v45, v47, v72
	v_pk_fma_f16 v73, v45, v48, v73
	s_waitcnt lgkmcnt(0)
	v_pk_fma_f16 v74, v59, v47, v74
	v_pk_fma_f16 v75, v59, v48, v75
	v_pk_fma_f16 v76, v60, v47, v76
	v_pk_fma_f16 v77, v60, v48, v77
	v_pk_fma_f16 v78, v61, v47, v78
	v_pk_fma_f16 v79, v61, v48, v79
	v_pk_fma_f16 v47, v62, v47, v80
	ds_read2_b64 v[42:45], v35 offset0:128 offset1:160
	v_pk_fma_f16 v46, v62, v48, v46
	ds_read2_b64 v[59:62], v35 offset0:192 offset1:224
	v_mul_u32_u24_sdwa v48, v49, s26 dst_sel:DWORD dst_unused:UNUSED_PAD src0_sel:WORD_0 src1_sel:DWORD
	v_mul_u32_u24_sdwa v49, v49, s26 dst_sel:DWORD dst_unused:UNUSED_PAD src0_sel:WORD_1 src1_sel:DWORD
	s_waitcnt lgkmcnt(1)
	v_pk_fma_f16 v67, v42, v48, v67
	v_pk_fma_f16 v68, v42, v49, v68
	v_pk_fma_f16 v69, v43, v48, v69
	v_pk_fma_f16 v70, v43, v49, v70
	v_pk_fma_f16 v50, v44, v48, v50
	v_pk_fma_f16 v71, v44, v49, v71
	v_pk_fma_f16 v72, v45, v48, v72
	v_pk_fma_f16 v73, v45, v49, v73
	s_waitcnt lgkmcnt(0)
	v_pk_fma_f16 v74, v59, v48, v74
	v_pk_fma_f16 v59, v59, v49, v75
	v_pk_fma_f16 v75, v60, v48, v76
	v_pk_fma_f16 v60, v60, v49, v77
	v_pk_fma_f16 v76, v61, v48, v78
	v_pk_fma_f16 v61, v61, v49, v79
	v_pk_fma_f16 v77, v62, v48, v47
	ds_read2_b64 v[42:45], v36 offset1:32
	v_pk_fma_f16 v62, v62, v49, v46
	ds_read2_b64 v[46:49], v36 offset0:64 offset1:96
	v_mul_u32_u24_sdwa v78, v63, s26 dst_sel:DWORD dst_unused:UNUSED_PAD src0_sel:WORD_0 src1_sel:DWORD
	v_mul_u32_u24_sdwa v63, v63, s26 dst_sel:DWORD dst_unused:UNUSED_PAD src0_sel:WORD_1 src1_sel:DWORD
	s_waitcnt lgkmcnt(1)
	v_pk_fma_f16 v67, v42, v78, v67
	v_pk_fma_f16 v68, v42, v63, v68
	v_pk_fma_f16 v69, v43, v78, v69
	v_pk_fma_f16 v70, v43, v63, v70
	v_pk_fma_f16 v50, v44, v78, v50
	v_pk_fma_f16 v71, v44, v63, v71
	v_pk_fma_f16 v72, v45, v78, v72
	v_pk_fma_f16 v73, v45, v63, v73
	s_waitcnt lgkmcnt(0)
	v_pk_fma_f16 v74, v46, v78, v74
	v_pk_fma_f16 v59, v46, v63, v59
	v_pk_fma_f16 v75, v47, v78, v75
	v_pk_fma_f16 v60, v47, v63, v60
	v_pk_fma_f16 v76, v48, v78, v76
	v_pk_fma_f16 v61, v48, v63, v61
	v_pk_fma_f16 v77, v49, v78, v77
	ds_read2_b64 v[42:45], v36 offset0:128 offset1:160
	v_pk_fma_f16 v62, v49, v63, v62
	ds_read2_b64 v[46:49], v36 offset0:192 offset1:224
	v_mul_u32_u24_sdwa v63, v64, s26 dst_sel:DWORD dst_unused:UNUSED_PAD src0_sel:WORD_0 src1_sel:DWORD
	v_mul_u32_u24_sdwa v64, v64, s26 dst_sel:DWORD dst_unused:UNUSED_PAD src0_sel:WORD_1 src1_sel:DWORD
	s_waitcnt lgkmcnt(1)
	v_pk_fma_f16 v67, v42, v63, v67
	v_pk_fma_f16 v68, v42, v64, v68
	v_pk_fma_f16 v69, v43, v63, v69
	v_pk_fma_f16 v70, v43, v64, v70
	v_pk_fma_f16 v50, v44, v63, v50
	v_pk_fma_f16 v71, v44, v64, v71
	v_pk_fma_f16 v72, v45, v63, v72
	v_pk_fma_f16 v73, v45, v64, v73
	s_waitcnt lgkmcnt(0)
	v_pk_fma_f16 v74, v46, v63, v74
	v_pk_fma_f16 v59, v46, v64, v59
	v_pk_fma_f16 v75, v47, v63, v75
	v_pk_fma_f16 v60, v47, v64, v60
	v_pk_fma_f16 v76, v48, v63, v76
	v_pk_fma_f16 v61, v48, v64, v61
	v_pk_fma_f16 v63, v49, v63, v77
	ds_read2_b64 v[42:45], v37 offset1:32
	v_pk_fma_f16 v62, v49, v64, v62
	ds_read2_b64 v[46:49], v37 offset0:64 offset1:96
	v_mul_u32_u24_sdwa v64, v65, s26 dst_sel:DWORD dst_unused:UNUSED_PAD src0_sel:WORD_0 src1_sel:DWORD
	v_mul_u32_u24_sdwa v65, v65, s26 dst_sel:DWORD dst_unused:UNUSED_PAD src0_sel:WORD_1 src1_sel:DWORD
	s_waitcnt lgkmcnt(1)
	v_pk_fma_f16 v67, v42, v64, v67
	v_pk_fma_f16 v68, v42, v65, v68
	v_pk_fma_f16 v69, v43, v64, v69
	v_pk_fma_f16 v70, v43, v65, v70
	v_pk_fma_f16 v50, v44, v64, v50
	v_pk_fma_f16 v71, v44, v65, v71
	v_pk_fma_f16 v72, v45, v64, v72
	v_pk_fma_f16 v73, v45, v65, v73
	s_waitcnt lgkmcnt(0)
	v_pk_fma_f16 v74, v46, v64, v74
	v_pk_fma_f16 v59, v46, v65, v59
	v_pk_fma_f16 v75, v47, v64, v75
	v_pk_fma_f16 v60, v47, v65, v60
	v_pk_fma_f16 v76, v48, v64, v76
	v_pk_fma_f16 v61, v48, v65, v61
	v_pk_fma_f16 v63, v49, v64, v63
	ds_read2_b64 v[42:45], v37 offset0:128 offset1:160
	v_pk_fma_f16 v62, v49, v65, v62
	ds_read2_b64 v[46:49], v37 offset0:192 offset1:224
	v_mul_u32_u24_sdwa v64, v66, s26 dst_sel:DWORD dst_unused:UNUSED_PAD src0_sel:WORD_0 src1_sel:DWORD
	v_mul_u32_u24_sdwa v65, v66, s26 dst_sel:DWORD dst_unused:UNUSED_PAD src0_sel:WORD_1 src1_sel:DWORD
	s_waitcnt lgkmcnt(1)
	v_pk_fma_f16 v66, v42, v64, v67
	v_pk_fma_f16 v67, v42, v65, v68
	v_pk_fma_f16 v68, v43, v64, v69
	v_pk_fma_f16 v69, v43, v65, v70
	v_pk_fma_f16 v50, v44, v64, v50
	v_pk_fma_f16 v70, v44, v65, v71
	v_pk_fma_f16 v71, v45, v64, v72
	v_pk_fma_f16 v72, v45, v65, v73
	s_waitcnt lgkmcnt(0)
	v_pk_fma_f16 v73, v46, v64, v74
	v_pk_fma_f16 v59, v46, v65, v59
	v_pk_fma_f16 v74, v47, v64, v75
	v_pk_fma_f16 v60, v47, v65, v60
	v_pk_fma_f16 v75, v48, v64, v76
	v_pk_fma_f16 v61, v48, v65, v61
	v_pk_fma_f16 v63, v49, v64, v63
	ds_read2_b64 v[42:45], v38 offset1:32
	v_pk_fma_f16 v62, v49, v65, v62
	ds_read2_b64 v[46:49], v38 offset0:64 offset1:96
	v_mul_u32_u24_sdwa v64, v5, s26 dst_sel:DWORD dst_unused:UNUSED_PAD src0_sel:WORD_0 src1_sel:DWORD
	v_mul_u32_u24_sdwa v5, v5, s26 dst_sel:DWORD dst_unused:UNUSED_PAD src0_sel:WORD_1 src1_sel:DWORD
	s_waitcnt lgkmcnt(1)
	v_pk_fma_f16 v65, v42, v64, v66
	v_pk_fma_f16 v66, v42, v5, v67
	v_pk_fma_f16 v67, v43, v64, v68
	v_pk_fma_f16 v68, v43, v5, v69
	v_pk_fma_f16 v50, v44, v64, v50
	v_pk_fma_f16 v69, v44, v5, v70
	v_pk_fma_f16 v70, v45, v64, v71
	v_pk_fma_f16 v71, v45, v5, v72
	s_waitcnt lgkmcnt(0)
	v_pk_fma_f16 v72, v46, v64, v73
	v_pk_fma_f16 v59, v46, v5, v59
	v_pk_fma_f16 v73, v47, v64, v74
	v_pk_fma_f16 v60, v47, v5, v60
	v_pk_fma_f16 v74, v48, v64, v75
	v_pk_fma_f16 v61, v48, v5, v61
	v_pk_fma_f16 v63, v49, v64, v63
	ds_read2_b64 v[42:45], v38 offset0:128 offset1:160
	v_pk_fma_f16 v5, v49, v5, v62
	ds_read2_b64 v[46:49], v38 offset0:192 offset1:224
	v_mul_u32_u24_sdwa v62, v6, s26 dst_sel:DWORD dst_unused:UNUSED_PAD src0_sel:WORD_0 src1_sel:DWORD
	v_mul_u32_u24_sdwa v6, v6, s26 dst_sel:DWORD dst_unused:UNUSED_PAD src0_sel:WORD_1 src1_sel:DWORD
	s_waitcnt lgkmcnt(1)
	v_pk_fma_f16 v64, v42, v62, v65
	v_pk_fma_f16 v65, v42, v6, v66
	v_pk_fma_f16 v66, v43, v62, v67
	v_pk_fma_f16 v67, v43, v6, v68
	v_pk_fma_f16 v50, v44, v62, v50
	v_pk_fma_f16 v68, v44, v6, v69
	v_pk_fma_f16 v69, v45, v62, v70
	v_pk_fma_f16 v70, v45, v6, v71
	s_waitcnt lgkmcnt(0)
	v_pk_fma_f16 v71, v46, v62, v72
	v_pk_fma_f16 v59, v46, v6, v59
	v_pk_fma_f16 v72, v47, v62, v73
	v_pk_fma_f16 v60, v47, v6, v60
	v_pk_fma_f16 v73, v48, v62, v74
	v_pk_fma_f16 v61, v48, v6, v61
	v_pk_fma_f16 v62, v49, v62, v63
	ds_read2_b64 v[42:45], v39 offset1:32
	v_pk_fma_f16 v5, v49, v6, v5
	ds_read2_b64 v[46:49], v39 offset0:64 offset1:96
	v_mul_u32_u24_sdwa v6, v7, s26 dst_sel:DWORD dst_unused:UNUSED_PAD src0_sel:WORD_0 src1_sel:DWORD
	v_mul_u32_u24_sdwa v7, v7, s26 dst_sel:DWORD dst_unused:UNUSED_PAD src0_sel:WORD_1 src1_sel:DWORD
	s_waitcnt lgkmcnt(1)
	v_pk_fma_f16 v63, v42, v6, v64
	v_pk_fma_f16 v64, v42, v7, v65
	;; [unrolled: 1-line block ×8, first 2 shown]
	s_waitcnt lgkmcnt(0)
	v_pk_fma_f16 v70, v46, v6, v71
	v_pk_fma_f16 v59, v46, v7, v59
	v_pk_fma_f16 v91, v47, v6, v72
	v_pk_fma_f16 v92, v47, v7, v60
	v_pk_fma_f16 v93, v48, v6, v73
	v_pk_fma_f16 v94, v48, v7, v61
	v_pk_fma_f16 v95, v49, v6, v62
	ds_read2_b64 v[42:45], v39 offset0:128 offset1:160
	v_pk_fma_f16 v96, v49, v7, v5
	ds_read2_b64 v[46:49], v39 offset0:192 offset1:224
	s_or_b32 s8, s6, 32
	s_mul_hi_i32 s9, s8, s15
	s_mul_i32 s8, s8, s15
	s_lshl_b64 s[8:9], s[8:9], 2
	v_mov_b32_e32 v83, s9
	v_add_co_u32_e32 v87, vcc, s8, v28
	v_mul_u32_u24_sdwa v97, v8, s26 dst_sel:DWORD dst_unused:UNUSED_PAD src0_sel:WORD_0 src1_sel:DWORD
	v_mul_u32_u24_sdwa v98, v8, s26 dst_sel:DWORD dst_unused:UNUSED_PAD src0_sel:WORD_1 src1_sel:DWORD
	v_addc_co_u32_e32 v88, vcc, v29, v83, vcc
	s_waitcnt lgkmcnt(1)
	v_pk_fma_f16 v99, v42, v97, v63
	v_pk_fma_f16 v100, v42, v98, v64
	;; [unrolled: 1-line block ×8, first 2 shown]
	s_waitcnt lgkmcnt(0)
	v_pk_fma_f16 v106, v46, v97, v70
	v_pk_fma_f16 v46, v46, v98, v59
	ds_read2_b64 v[5:8], v41 offset1:32
	ds_read2_b64 v[42:45], v41 offset0:64 offset1:96
	ds_read2_b64 v[59:62], v41 offset0:128 offset1:160
	;; [unrolled: 1-line block ×3, first 2 shown]
	ds_read2_b64 v[67:70], v40 offset1:32
	ds_read2_b64 v[71:74], v40 offset0:64 offset1:96
	ds_read2_b64 v[75:78], v40 offset0:128 offset1:160
	;; [unrolled: 1-line block ×3, first 2 shown]
	s_waitcnt lgkmcnt(0)
	s_barrier
	global_load_dwordx4 v[83:86], v[87:88], off
	s_nop 0
	global_load_dwordx4 v[87:90], v[87:88], off offset:512
	v_pk_fma_f16 v91, v47, v97, v91
	v_pk_fma_f16 v47, v47, v98, v92
	v_pk_fma_f16 v92, v48, v97, v93
	v_pk_fma_f16 v48, v48, v98, v94
	v_pk_fma_f16 v93, v49, v97, v95
	v_pk_fma_f16 v49, v49, v98, v96
	v_mul_u32_u24_sdwa v94, v1, s26 dst_sel:DWORD dst_unused:UNUSED_PAD src0_sel:WORD_0 src1_sel:DWORD
	v_mul_u32_u24_sdwa v1, v1, s26 dst_sel:DWORD dst_unused:UNUSED_PAD src0_sel:WORD_1 src1_sel:DWORD
	v_pk_fma_f16 v95, v5, v94, v99
	v_pk_fma_f16 v5, v5, v1, v100
	v_pk_fma_f16 v96, v6, v94, v101
	v_pk_fma_f16 v6, v6, v1, v102
	v_pk_fma_f16 v50, v7, v94, v50
	v_pk_fma_f16 v7, v7, v1, v103
	v_pk_fma_f16 v97, v8, v94, v104
	v_pk_fma_f16 v8, v8, v1, v105
	v_pk_fma_f16 v98, v42, v94, v106
	v_pk_fma_f16 v42, v42, v1, v46
	v_pk_fma_f16 v46, v43, v94, v91
	v_pk_fma_f16 v43, v43, v1, v47
	v_pk_fma_f16 v47, v44, v94, v92
	v_pk_fma_f16 v44, v44, v1, v48
	v_pk_fma_f16 v48, v45, v94, v93
	v_pk_fma_f16 v1, v45, v1, v49
	v_mul_u32_u24_sdwa v45, v2, s26 dst_sel:DWORD dst_unused:UNUSED_PAD src0_sel:WORD_0 src1_sel:DWORD
	v_mul_u32_u24_sdwa v2, v2, s26 dst_sel:DWORD dst_unused:UNUSED_PAD src0_sel:WORD_1 src1_sel:DWORD
	v_pk_fma_f16 v49, v59, v45, v95
	v_pk_fma_f16 v5, v59, v2, v5
	v_pk_fma_f16 v59, v60, v45, v96
	v_pk_fma_f16 v6, v60, v2, v6
	v_pk_fma_f16 v50, v61, v45, v50
	v_pk_fma_f16 v7, v61, v2, v7
	v_pk_fma_f16 v60, v62, v45, v97
	v_pk_fma_f16 v8, v62, v2, v8
	v_pk_fma_f16 v61, v63, v45, v98
	v_pk_fma_f16 v42, v63, v2, v42
	;; [unrolled: 18-line block ×4, first 2 shown]
	v_pk_fma_f16 v76, v80, v3, v46
	v_pk_fma_f16 v77, v80, v4, v43
	;; [unrolled: 1-line block ×6, first 2 shown]
	s_waitcnt vmcnt(1)
	ds_write_b128 v25, v[83:86]
	s_waitcnt vmcnt(0)
	ds_write_b128 v26, v[87:90]
	s_waitcnt lgkmcnt(0)
	s_barrier
	ds_read2_b64 v[42:45], v27 offset1:32
	ds_read_b128 v[46:49], v24 offset:128
	ds_read2_b64 v[59:62], v27 offset0:64 offset1:96
	ds_read_b128 v[63:66], v24 offset:144
	ds_read_b128 v[5:8], v24 offset:160
	;; [unrolled: 1-line block ×3, first 2 shown]
	s_waitcnt lgkmcnt(4)
	v_mul_u32_u24_sdwa v82, v46, s26 dst_sel:DWORD dst_unused:UNUSED_PAD src0_sel:WORD_0 src1_sel:DWORD
	v_mul_u32_u24_sdwa v46, v46, s26 dst_sel:DWORD dst_unused:UNUSED_PAD src0_sel:WORD_1 src1_sel:DWORD
	v_pk_fma_f16 v67, v42, v82, v67
	v_pk_fma_f16 v68, v42, v46, v68
	v_pk_fma_f16 v69, v43, v82, v69
	v_pk_fma_f16 v70, v43, v46, v70
	v_pk_fma_f16 v50, v44, v82, v50
	v_pk_fma_f16 v71, v44, v46, v71
	v_pk_fma_f16 v72, v45, v82, v72
	v_pk_fma_f16 v73, v45, v46, v73
	s_waitcnt lgkmcnt(3)
	v_pk_fma_f16 v74, v59, v82, v74
	v_pk_fma_f16 v75, v59, v46, v75
	v_pk_fma_f16 v76, v60, v82, v76
	v_pk_fma_f16 v77, v60, v46, v77
	v_pk_fma_f16 v78, v61, v82, v78
	v_pk_fma_f16 v79, v61, v46, v79
	v_pk_fma_f16 v80, v62, v82, v80
	ds_read2_b64 v[42:45], v27 offset0:128 offset1:160
	v_pk_fma_f16 v46, v62, v46, v81
	ds_read2_b64 v[59:62], v27 offset0:192 offset1:224
	v_mul_u32_u24_sdwa v81, v47, s26 dst_sel:DWORD dst_unused:UNUSED_PAD src0_sel:WORD_0 src1_sel:DWORD
	v_mul_u32_u24_sdwa v47, v47, s26 dst_sel:DWORD dst_unused:UNUSED_PAD src0_sel:WORD_1 src1_sel:DWORD
	s_waitcnt lgkmcnt(1)
	v_pk_fma_f16 v67, v42, v81, v67
	v_pk_fma_f16 v68, v42, v47, v68
	v_pk_fma_f16 v69, v43, v81, v69
	v_pk_fma_f16 v70, v43, v47, v70
	v_pk_fma_f16 v50, v44, v81, v50
	v_pk_fma_f16 v71, v44, v47, v71
	v_pk_fma_f16 v72, v45, v81, v72
	v_pk_fma_f16 v73, v45, v47, v73
	s_waitcnt lgkmcnt(0)
	v_pk_fma_f16 v74, v59, v81, v74
	v_pk_fma_f16 v75, v59, v47, v75
	v_pk_fma_f16 v76, v60, v81, v76
	v_pk_fma_f16 v77, v60, v47, v77
	v_pk_fma_f16 v78, v61, v81, v78
	v_pk_fma_f16 v79, v61, v47, v79
	v_pk_fma_f16 v80, v62, v81, v80
	ds_read2_b64 v[42:45], v35 offset1:32
	v_pk_fma_f16 v46, v62, v47, v46
	ds_read2_b64 v[59:62], v35 offset0:64 offset1:96
	v_mul_u32_u24_sdwa v47, v48, s26 dst_sel:DWORD dst_unused:UNUSED_PAD src0_sel:WORD_0 src1_sel:DWORD
	v_mul_u32_u24_sdwa v48, v48, s26 dst_sel:DWORD dst_unused:UNUSED_PAD src0_sel:WORD_1 src1_sel:DWORD
	s_waitcnt lgkmcnt(1)
	v_pk_fma_f16 v67, v42, v47, v67
	v_pk_fma_f16 v68, v42, v48, v68
	v_pk_fma_f16 v69, v43, v47, v69
	v_pk_fma_f16 v70, v43, v48, v70
	v_pk_fma_f16 v50, v44, v47, v50
	v_pk_fma_f16 v71, v44, v48, v71
	v_pk_fma_f16 v72, v45, v47, v72
	v_pk_fma_f16 v73, v45, v48, v73
	s_waitcnt lgkmcnt(0)
	v_pk_fma_f16 v74, v59, v47, v74
	v_pk_fma_f16 v75, v59, v48, v75
	v_pk_fma_f16 v76, v60, v47, v76
	v_pk_fma_f16 v77, v60, v48, v77
	v_pk_fma_f16 v78, v61, v47, v78
	v_pk_fma_f16 v79, v61, v48, v79
	v_pk_fma_f16 v47, v62, v47, v80
	ds_read2_b64 v[42:45], v35 offset0:128 offset1:160
	v_pk_fma_f16 v46, v62, v48, v46
	ds_read2_b64 v[59:62], v35 offset0:192 offset1:224
	v_mul_u32_u24_sdwa v48, v49, s26 dst_sel:DWORD dst_unused:UNUSED_PAD src0_sel:WORD_0 src1_sel:DWORD
	v_mul_u32_u24_sdwa v49, v49, s26 dst_sel:DWORD dst_unused:UNUSED_PAD src0_sel:WORD_1 src1_sel:DWORD
	s_waitcnt lgkmcnt(1)
	v_pk_fma_f16 v67, v42, v48, v67
	v_pk_fma_f16 v68, v42, v49, v68
	v_pk_fma_f16 v69, v43, v48, v69
	v_pk_fma_f16 v70, v43, v49, v70
	v_pk_fma_f16 v50, v44, v48, v50
	v_pk_fma_f16 v71, v44, v49, v71
	v_pk_fma_f16 v72, v45, v48, v72
	v_pk_fma_f16 v73, v45, v49, v73
	s_waitcnt lgkmcnt(0)
	v_pk_fma_f16 v74, v59, v48, v74
	v_pk_fma_f16 v59, v59, v49, v75
	v_pk_fma_f16 v75, v60, v48, v76
	v_pk_fma_f16 v60, v60, v49, v77
	v_pk_fma_f16 v76, v61, v48, v78
	v_pk_fma_f16 v61, v61, v49, v79
	v_pk_fma_f16 v77, v62, v48, v47
	ds_read2_b64 v[42:45], v36 offset1:32
	v_pk_fma_f16 v62, v62, v49, v46
	ds_read2_b64 v[46:49], v36 offset0:64 offset1:96
	v_mul_u32_u24_sdwa v78, v63, s26 dst_sel:DWORD dst_unused:UNUSED_PAD src0_sel:WORD_0 src1_sel:DWORD
	v_mul_u32_u24_sdwa v63, v63, s26 dst_sel:DWORD dst_unused:UNUSED_PAD src0_sel:WORD_1 src1_sel:DWORD
	s_waitcnt lgkmcnt(1)
	;; [unrolled: 44-line block ×5, first 2 shown]
	v_pk_fma_f16 v63, v42, v6, v64
	v_pk_fma_f16 v64, v42, v7, v65
	v_pk_fma_f16 v65, v43, v6, v66
	v_pk_fma_f16 v66, v43, v7, v67
	v_pk_fma_f16 v50, v44, v6, v50
	v_pk_fma_f16 v67, v44, v7, v68
	v_pk_fma_f16 v68, v45, v6, v69
	v_pk_fma_f16 v69, v45, v7, v70
	s_waitcnt lgkmcnt(0)
	v_pk_fma_f16 v70, v46, v6, v71
	v_pk_fma_f16 v59, v46, v7, v59
	;; [unrolled: 1-line block ×7, first 2 shown]
	ds_read2_b64 v[42:45], v39 offset0:128 offset1:160
	v_pk_fma_f16 v96, v49, v7, v5
	ds_read2_b64 v[46:49], v39 offset0:192 offset1:224
	s_or_b32 s8, s6, 48
	s_mul_hi_i32 s9, s8, s15
	s_mul_i32 s8, s8, s15
	s_lshl_b64 s[8:9], s[8:9], 2
	v_mov_b32_e32 v83, s9
	v_add_co_u32_e32 v87, vcc, s8, v28
	v_mul_u32_u24_sdwa v97, v8, s26 dst_sel:DWORD dst_unused:UNUSED_PAD src0_sel:WORD_0 src1_sel:DWORD
	v_mul_u32_u24_sdwa v98, v8, s26 dst_sel:DWORD dst_unused:UNUSED_PAD src0_sel:WORD_1 src1_sel:DWORD
	v_addc_co_u32_e32 v88, vcc, v29, v83, vcc
	s_waitcnt lgkmcnt(1)
	v_pk_fma_f16 v99, v42, v97, v63
	v_pk_fma_f16 v100, v42, v98, v64
	;; [unrolled: 1-line block ×8, first 2 shown]
	s_waitcnt lgkmcnt(0)
	v_pk_fma_f16 v106, v46, v97, v70
	v_pk_fma_f16 v46, v46, v98, v59
	ds_read2_b64 v[5:8], v41 offset1:32
	ds_read2_b64 v[42:45], v41 offset0:64 offset1:96
	ds_read2_b64 v[59:62], v41 offset0:128 offset1:160
	;; [unrolled: 1-line block ×3, first 2 shown]
	ds_read2_b64 v[67:70], v40 offset1:32
	ds_read2_b64 v[71:74], v40 offset0:64 offset1:96
	ds_read2_b64 v[75:78], v40 offset0:128 offset1:160
	;; [unrolled: 1-line block ×3, first 2 shown]
	s_waitcnt lgkmcnt(0)
	s_barrier
	global_load_dwordx4 v[83:86], v[87:88], off
	s_nop 0
	global_load_dwordx4 v[87:90], v[87:88], off offset:512
	v_pk_fma_f16 v91, v47, v97, v91
	v_pk_fma_f16 v47, v47, v98, v92
	v_pk_fma_f16 v92, v48, v97, v93
	v_pk_fma_f16 v48, v48, v98, v94
	v_pk_fma_f16 v93, v49, v97, v95
	v_pk_fma_f16 v49, v49, v98, v96
	v_mul_u32_u24_sdwa v94, v1, s26 dst_sel:DWORD dst_unused:UNUSED_PAD src0_sel:WORD_0 src1_sel:DWORD
	v_mul_u32_u24_sdwa v1, v1, s26 dst_sel:DWORD dst_unused:UNUSED_PAD src0_sel:WORD_1 src1_sel:DWORD
	v_pk_fma_f16 v95, v5, v94, v99
	v_pk_fma_f16 v5, v5, v1, v100
	v_pk_fma_f16 v96, v6, v94, v101
	v_pk_fma_f16 v6, v6, v1, v102
	v_pk_fma_f16 v50, v7, v94, v50
	v_pk_fma_f16 v7, v7, v1, v103
	v_pk_fma_f16 v97, v8, v94, v104
	v_pk_fma_f16 v8, v8, v1, v105
	v_pk_fma_f16 v98, v42, v94, v106
	v_pk_fma_f16 v42, v42, v1, v46
	v_pk_fma_f16 v46, v43, v94, v91
	v_pk_fma_f16 v43, v43, v1, v47
	v_pk_fma_f16 v47, v44, v94, v92
	v_pk_fma_f16 v44, v44, v1, v48
	v_pk_fma_f16 v48, v45, v94, v93
	v_pk_fma_f16 v1, v45, v1, v49
	v_mul_u32_u24_sdwa v45, v2, s26 dst_sel:DWORD dst_unused:UNUSED_PAD src0_sel:WORD_0 src1_sel:DWORD
	v_mul_u32_u24_sdwa v2, v2, s26 dst_sel:DWORD dst_unused:UNUSED_PAD src0_sel:WORD_1 src1_sel:DWORD
	v_pk_fma_f16 v49, v59, v45, v95
	v_pk_fma_f16 v5, v59, v2, v5
	v_pk_fma_f16 v59, v60, v45, v96
	v_pk_fma_f16 v6, v60, v2, v6
	v_pk_fma_f16 v50, v61, v45, v50
	v_pk_fma_f16 v7, v61, v2, v7
	v_pk_fma_f16 v60, v62, v45, v97
	v_pk_fma_f16 v8, v62, v2, v8
	v_pk_fma_f16 v61, v63, v45, v98
	v_pk_fma_f16 v42, v63, v2, v42
	;; [unrolled: 18-line block ×4, first 2 shown]
	v_pk_fma_f16 v76, v80, v3, v46
	v_pk_fma_f16 v77, v80, v4, v43
	;; [unrolled: 1-line block ×6, first 2 shown]
	s_waitcnt vmcnt(1)
	ds_write_b128 v25, v[83:86]
	s_waitcnt vmcnt(0)
	ds_write_b128 v26, v[87:90]
	s_waitcnt lgkmcnt(0)
	s_barrier
	ds_read2_b64 v[42:45], v27 offset1:32
	ds_read_b128 v[46:49], v24 offset:192
	ds_read2_b64 v[59:62], v27 offset0:64 offset1:96
	ds_read_b128 v[63:66], v24 offset:208
	ds_read_b128 v[5:8], v24 offset:224
	;; [unrolled: 1-line block ×3, first 2 shown]
	s_waitcnt lgkmcnt(4)
	v_mul_u32_u24_sdwa v82, v46, s26 dst_sel:DWORD dst_unused:UNUSED_PAD src0_sel:WORD_0 src1_sel:DWORD
	v_mul_u32_u24_sdwa v46, v46, s26 dst_sel:DWORD dst_unused:UNUSED_PAD src0_sel:WORD_1 src1_sel:DWORD
	v_pk_fma_f16 v67, v42, v82, v67
	v_pk_fma_f16 v68, v42, v46, v68
	v_pk_fma_f16 v69, v43, v82, v69
	v_pk_fma_f16 v70, v43, v46, v70
	v_pk_fma_f16 v50, v44, v82, v50
	v_pk_fma_f16 v71, v44, v46, v71
	v_pk_fma_f16 v72, v45, v82, v72
	v_pk_fma_f16 v73, v45, v46, v73
	s_waitcnt lgkmcnt(3)
	v_pk_fma_f16 v74, v59, v82, v74
	v_pk_fma_f16 v75, v59, v46, v75
	v_pk_fma_f16 v76, v60, v82, v76
	v_pk_fma_f16 v77, v60, v46, v77
	v_pk_fma_f16 v78, v61, v82, v78
	v_pk_fma_f16 v79, v61, v46, v79
	v_pk_fma_f16 v80, v62, v82, v80
	ds_read2_b64 v[42:45], v27 offset0:128 offset1:160
	v_pk_fma_f16 v46, v62, v46, v81
	ds_read2_b64 v[59:62], v27 offset0:192 offset1:224
	v_mul_u32_u24_sdwa v81, v47, s26 dst_sel:DWORD dst_unused:UNUSED_PAD src0_sel:WORD_0 src1_sel:DWORD
	v_mul_u32_u24_sdwa v47, v47, s26 dst_sel:DWORD dst_unused:UNUSED_PAD src0_sel:WORD_1 src1_sel:DWORD
	s_waitcnt lgkmcnt(1)
	v_pk_fma_f16 v67, v42, v81, v67
	v_pk_fma_f16 v68, v42, v47, v68
	v_pk_fma_f16 v69, v43, v81, v69
	v_pk_fma_f16 v70, v43, v47, v70
	v_pk_fma_f16 v50, v44, v81, v50
	v_pk_fma_f16 v71, v44, v47, v71
	v_pk_fma_f16 v72, v45, v81, v72
	v_pk_fma_f16 v73, v45, v47, v73
	s_waitcnt lgkmcnt(0)
	v_pk_fma_f16 v74, v59, v81, v74
	v_pk_fma_f16 v75, v59, v47, v75
	v_pk_fma_f16 v76, v60, v81, v76
	v_pk_fma_f16 v77, v60, v47, v77
	v_pk_fma_f16 v78, v61, v81, v78
	v_pk_fma_f16 v79, v61, v47, v79
	v_pk_fma_f16 v80, v62, v81, v80
	ds_read2_b64 v[42:45], v35 offset1:32
	v_pk_fma_f16 v46, v62, v47, v46
	ds_read2_b64 v[59:62], v35 offset0:64 offset1:96
	v_mul_u32_u24_sdwa v47, v48, s26 dst_sel:DWORD dst_unused:UNUSED_PAD src0_sel:WORD_0 src1_sel:DWORD
	v_mul_u32_u24_sdwa v48, v48, s26 dst_sel:DWORD dst_unused:UNUSED_PAD src0_sel:WORD_1 src1_sel:DWORD
	s_waitcnt lgkmcnt(1)
	v_pk_fma_f16 v67, v42, v47, v67
	v_pk_fma_f16 v68, v42, v48, v68
	v_pk_fma_f16 v69, v43, v47, v69
	v_pk_fma_f16 v70, v43, v48, v70
	v_pk_fma_f16 v50, v44, v47, v50
	v_pk_fma_f16 v71, v44, v48, v71
	v_pk_fma_f16 v72, v45, v47, v72
	v_pk_fma_f16 v73, v45, v48, v73
	s_waitcnt lgkmcnt(0)
	v_pk_fma_f16 v74, v59, v47, v74
	v_pk_fma_f16 v75, v59, v48, v75
	v_pk_fma_f16 v76, v60, v47, v76
	v_pk_fma_f16 v77, v60, v48, v77
	v_pk_fma_f16 v78, v61, v47, v78
	v_pk_fma_f16 v79, v61, v48, v79
	v_pk_fma_f16 v47, v62, v47, v80
	ds_read2_b64 v[42:45], v35 offset0:128 offset1:160
	v_pk_fma_f16 v46, v62, v48, v46
	ds_read2_b64 v[59:62], v35 offset0:192 offset1:224
	v_mul_u32_u24_sdwa v48, v49, s26 dst_sel:DWORD dst_unused:UNUSED_PAD src0_sel:WORD_0 src1_sel:DWORD
	v_mul_u32_u24_sdwa v49, v49, s26 dst_sel:DWORD dst_unused:UNUSED_PAD src0_sel:WORD_1 src1_sel:DWORD
	s_waitcnt lgkmcnt(1)
	v_pk_fma_f16 v67, v42, v48, v67
	v_pk_fma_f16 v68, v42, v49, v68
	v_pk_fma_f16 v69, v43, v48, v69
	v_pk_fma_f16 v70, v43, v49, v70
	v_pk_fma_f16 v50, v44, v48, v50
	v_pk_fma_f16 v71, v44, v49, v71
	v_pk_fma_f16 v72, v45, v48, v72
	v_pk_fma_f16 v73, v45, v49, v73
	s_waitcnt lgkmcnt(0)
	v_pk_fma_f16 v74, v59, v48, v74
	v_pk_fma_f16 v59, v59, v49, v75
	v_pk_fma_f16 v75, v60, v48, v76
	v_pk_fma_f16 v60, v60, v49, v77
	v_pk_fma_f16 v76, v61, v48, v78
	v_pk_fma_f16 v61, v61, v49, v79
	v_pk_fma_f16 v77, v62, v48, v47
	ds_read2_b64 v[42:45], v36 offset1:32
	v_pk_fma_f16 v62, v62, v49, v46
	ds_read2_b64 v[46:49], v36 offset0:64 offset1:96
	v_mul_u32_u24_sdwa v78, v63, s26 dst_sel:DWORD dst_unused:UNUSED_PAD src0_sel:WORD_0 src1_sel:DWORD
	v_mul_u32_u24_sdwa v63, v63, s26 dst_sel:DWORD dst_unused:UNUSED_PAD src0_sel:WORD_1 src1_sel:DWORD
	s_waitcnt lgkmcnt(1)
	;; [unrolled: 44-line block ×5, first 2 shown]
	v_pk_fma_f16 v63, v42, v6, v64
	v_pk_fma_f16 v64, v42, v7, v65
	;; [unrolled: 1-line block ×8, first 2 shown]
	s_waitcnt lgkmcnt(0)
	v_pk_fma_f16 v70, v46, v6, v71
	v_pk_fma_f16 v59, v46, v7, v59
	;; [unrolled: 1-line block ×7, first 2 shown]
	ds_read2_b64 v[42:45], v39 offset0:128 offset1:160
	v_pk_fma_f16 v96, v49, v7, v5
	ds_read2_b64 v[46:49], v39 offset0:192 offset1:224
	s_or_b32 s8, s6, 64
	s_mul_hi_i32 s9, s8, s15
	s_mul_i32 s8, s8, s15
	s_lshl_b64 s[8:9], s[8:9], 2
	v_mov_b32_e32 v83, s9
	v_add_co_u32_e32 v87, vcc, s8, v28
	v_mul_u32_u24_sdwa v97, v8, s26 dst_sel:DWORD dst_unused:UNUSED_PAD src0_sel:WORD_0 src1_sel:DWORD
	v_mul_u32_u24_sdwa v98, v8, s26 dst_sel:DWORD dst_unused:UNUSED_PAD src0_sel:WORD_1 src1_sel:DWORD
	v_addc_co_u32_e32 v88, vcc, v29, v83, vcc
	s_waitcnt lgkmcnt(1)
	v_pk_fma_f16 v99, v42, v97, v63
	v_pk_fma_f16 v100, v42, v98, v64
	v_pk_fma_f16 v101, v43, v97, v65
	v_pk_fma_f16 v102, v43, v98, v66
	v_pk_fma_f16 v50, v44, v97, v50
	v_pk_fma_f16 v103, v44, v98, v67
	v_pk_fma_f16 v104, v45, v97, v68
	v_pk_fma_f16 v105, v45, v98, v69
	s_waitcnt lgkmcnt(0)
	v_pk_fma_f16 v106, v46, v97, v70
	v_pk_fma_f16 v46, v46, v98, v59
	ds_read2_b64 v[5:8], v41 offset1:32
	ds_read2_b64 v[42:45], v41 offset0:64 offset1:96
	ds_read2_b64 v[59:62], v41 offset0:128 offset1:160
	;; [unrolled: 1-line block ×3, first 2 shown]
	ds_read2_b64 v[67:70], v40 offset1:32
	ds_read2_b64 v[71:74], v40 offset0:64 offset1:96
	ds_read2_b64 v[75:78], v40 offset0:128 offset1:160
	;; [unrolled: 1-line block ×3, first 2 shown]
	s_waitcnt lgkmcnt(0)
	s_barrier
	global_load_dwordx4 v[83:86], v[87:88], off
	s_nop 0
	global_load_dwordx4 v[87:90], v[87:88], off offset:512
	v_pk_fma_f16 v91, v47, v97, v91
	v_pk_fma_f16 v47, v47, v98, v92
	v_pk_fma_f16 v92, v48, v97, v93
	v_pk_fma_f16 v48, v48, v98, v94
	v_pk_fma_f16 v93, v49, v97, v95
	v_pk_fma_f16 v49, v49, v98, v96
	v_mul_u32_u24_sdwa v94, v1, s26 dst_sel:DWORD dst_unused:UNUSED_PAD src0_sel:WORD_0 src1_sel:DWORD
	v_mul_u32_u24_sdwa v1, v1, s26 dst_sel:DWORD dst_unused:UNUSED_PAD src0_sel:WORD_1 src1_sel:DWORD
	v_pk_fma_f16 v95, v5, v94, v99
	v_pk_fma_f16 v5, v5, v1, v100
	v_pk_fma_f16 v96, v6, v94, v101
	v_pk_fma_f16 v6, v6, v1, v102
	v_pk_fma_f16 v50, v7, v94, v50
	v_pk_fma_f16 v7, v7, v1, v103
	v_pk_fma_f16 v97, v8, v94, v104
	v_pk_fma_f16 v8, v8, v1, v105
	v_pk_fma_f16 v98, v42, v94, v106
	v_pk_fma_f16 v42, v42, v1, v46
	v_pk_fma_f16 v46, v43, v94, v91
	v_pk_fma_f16 v43, v43, v1, v47
	v_pk_fma_f16 v47, v44, v94, v92
	v_pk_fma_f16 v44, v44, v1, v48
	v_pk_fma_f16 v48, v45, v94, v93
	v_pk_fma_f16 v1, v45, v1, v49
	v_mul_u32_u24_sdwa v45, v2, s26 dst_sel:DWORD dst_unused:UNUSED_PAD src0_sel:WORD_0 src1_sel:DWORD
	v_mul_u32_u24_sdwa v2, v2, s26 dst_sel:DWORD dst_unused:UNUSED_PAD src0_sel:WORD_1 src1_sel:DWORD
	v_pk_fma_f16 v49, v59, v45, v95
	v_pk_fma_f16 v5, v59, v2, v5
	v_pk_fma_f16 v59, v60, v45, v96
	v_pk_fma_f16 v6, v60, v2, v6
	v_pk_fma_f16 v50, v61, v45, v50
	v_pk_fma_f16 v7, v61, v2, v7
	v_pk_fma_f16 v60, v62, v45, v97
	v_pk_fma_f16 v8, v62, v2, v8
	v_pk_fma_f16 v61, v63, v45, v98
	v_pk_fma_f16 v42, v63, v2, v42
	;; [unrolled: 18-line block ×4, first 2 shown]
	v_pk_fma_f16 v76, v80, v3, v46
	v_pk_fma_f16 v77, v80, v4, v43
	;; [unrolled: 1-line block ×6, first 2 shown]
	s_waitcnt vmcnt(1)
	ds_write_b128 v25, v[83:86]
	s_waitcnt vmcnt(0)
	ds_write_b128 v26, v[87:90]
	s_waitcnt lgkmcnt(0)
	s_barrier
	ds_read2_b64 v[42:45], v27 offset1:32
	ds_read_b128 v[46:49], v24 offset:256
	ds_read2_b64 v[59:62], v27 offset0:64 offset1:96
	ds_read_b128 v[63:66], v24 offset:272
	ds_read_b128 v[5:8], v24 offset:288
	;; [unrolled: 1-line block ×3, first 2 shown]
	s_waitcnt lgkmcnt(4)
	v_mul_u32_u24_sdwa v82, v46, s26 dst_sel:DWORD dst_unused:UNUSED_PAD src0_sel:WORD_0 src1_sel:DWORD
	v_mul_u32_u24_sdwa v46, v46, s26 dst_sel:DWORD dst_unused:UNUSED_PAD src0_sel:WORD_1 src1_sel:DWORD
	v_pk_fma_f16 v67, v42, v82, v67
	v_pk_fma_f16 v68, v42, v46, v68
	v_pk_fma_f16 v69, v43, v82, v69
	v_pk_fma_f16 v70, v43, v46, v70
	v_pk_fma_f16 v50, v44, v82, v50
	v_pk_fma_f16 v71, v44, v46, v71
	v_pk_fma_f16 v72, v45, v82, v72
	v_pk_fma_f16 v73, v45, v46, v73
	s_waitcnt lgkmcnt(3)
	v_pk_fma_f16 v74, v59, v82, v74
	v_pk_fma_f16 v75, v59, v46, v75
	v_pk_fma_f16 v76, v60, v82, v76
	v_pk_fma_f16 v77, v60, v46, v77
	v_pk_fma_f16 v78, v61, v82, v78
	v_pk_fma_f16 v79, v61, v46, v79
	v_pk_fma_f16 v80, v62, v82, v80
	ds_read2_b64 v[42:45], v27 offset0:128 offset1:160
	v_pk_fma_f16 v46, v62, v46, v81
	ds_read2_b64 v[59:62], v27 offset0:192 offset1:224
	v_mul_u32_u24_sdwa v81, v47, s26 dst_sel:DWORD dst_unused:UNUSED_PAD src0_sel:WORD_0 src1_sel:DWORD
	v_mul_u32_u24_sdwa v47, v47, s26 dst_sel:DWORD dst_unused:UNUSED_PAD src0_sel:WORD_1 src1_sel:DWORD
	s_waitcnt lgkmcnt(1)
	v_pk_fma_f16 v67, v42, v81, v67
	v_pk_fma_f16 v68, v42, v47, v68
	v_pk_fma_f16 v69, v43, v81, v69
	v_pk_fma_f16 v70, v43, v47, v70
	v_pk_fma_f16 v50, v44, v81, v50
	v_pk_fma_f16 v71, v44, v47, v71
	v_pk_fma_f16 v72, v45, v81, v72
	v_pk_fma_f16 v73, v45, v47, v73
	s_waitcnt lgkmcnt(0)
	v_pk_fma_f16 v74, v59, v81, v74
	v_pk_fma_f16 v75, v59, v47, v75
	v_pk_fma_f16 v76, v60, v81, v76
	v_pk_fma_f16 v77, v60, v47, v77
	v_pk_fma_f16 v78, v61, v81, v78
	v_pk_fma_f16 v79, v61, v47, v79
	v_pk_fma_f16 v80, v62, v81, v80
	ds_read2_b64 v[42:45], v35 offset1:32
	v_pk_fma_f16 v46, v62, v47, v46
	ds_read2_b64 v[59:62], v35 offset0:64 offset1:96
	v_mul_u32_u24_sdwa v47, v48, s26 dst_sel:DWORD dst_unused:UNUSED_PAD src0_sel:WORD_0 src1_sel:DWORD
	v_mul_u32_u24_sdwa v48, v48, s26 dst_sel:DWORD dst_unused:UNUSED_PAD src0_sel:WORD_1 src1_sel:DWORD
	s_waitcnt lgkmcnt(1)
	v_pk_fma_f16 v67, v42, v47, v67
	v_pk_fma_f16 v68, v42, v48, v68
	v_pk_fma_f16 v69, v43, v47, v69
	v_pk_fma_f16 v70, v43, v48, v70
	v_pk_fma_f16 v50, v44, v47, v50
	v_pk_fma_f16 v71, v44, v48, v71
	v_pk_fma_f16 v72, v45, v47, v72
	v_pk_fma_f16 v73, v45, v48, v73
	s_waitcnt lgkmcnt(0)
	v_pk_fma_f16 v74, v59, v47, v74
	v_pk_fma_f16 v75, v59, v48, v75
	v_pk_fma_f16 v76, v60, v47, v76
	v_pk_fma_f16 v77, v60, v48, v77
	v_pk_fma_f16 v78, v61, v47, v78
	v_pk_fma_f16 v79, v61, v48, v79
	v_pk_fma_f16 v47, v62, v47, v80
	ds_read2_b64 v[42:45], v35 offset0:128 offset1:160
	v_pk_fma_f16 v46, v62, v48, v46
	ds_read2_b64 v[59:62], v35 offset0:192 offset1:224
	v_mul_u32_u24_sdwa v48, v49, s26 dst_sel:DWORD dst_unused:UNUSED_PAD src0_sel:WORD_0 src1_sel:DWORD
	v_mul_u32_u24_sdwa v49, v49, s26 dst_sel:DWORD dst_unused:UNUSED_PAD src0_sel:WORD_1 src1_sel:DWORD
	s_waitcnt lgkmcnt(1)
	v_pk_fma_f16 v67, v42, v48, v67
	v_pk_fma_f16 v68, v42, v49, v68
	v_pk_fma_f16 v69, v43, v48, v69
	v_pk_fma_f16 v70, v43, v49, v70
	v_pk_fma_f16 v50, v44, v48, v50
	v_pk_fma_f16 v71, v44, v49, v71
	v_pk_fma_f16 v72, v45, v48, v72
	v_pk_fma_f16 v73, v45, v49, v73
	s_waitcnt lgkmcnt(0)
	v_pk_fma_f16 v74, v59, v48, v74
	v_pk_fma_f16 v59, v59, v49, v75
	v_pk_fma_f16 v75, v60, v48, v76
	v_pk_fma_f16 v60, v60, v49, v77
	v_pk_fma_f16 v76, v61, v48, v78
	v_pk_fma_f16 v61, v61, v49, v79
	v_pk_fma_f16 v77, v62, v48, v47
	ds_read2_b64 v[42:45], v36 offset1:32
	v_pk_fma_f16 v62, v62, v49, v46
	ds_read2_b64 v[46:49], v36 offset0:64 offset1:96
	v_mul_u32_u24_sdwa v78, v63, s26 dst_sel:DWORD dst_unused:UNUSED_PAD src0_sel:WORD_0 src1_sel:DWORD
	v_mul_u32_u24_sdwa v63, v63, s26 dst_sel:DWORD dst_unused:UNUSED_PAD src0_sel:WORD_1 src1_sel:DWORD
	s_waitcnt lgkmcnt(1)
	;; [unrolled: 44-line block ×5, first 2 shown]
	v_pk_fma_f16 v63, v42, v6, v64
	v_pk_fma_f16 v64, v42, v7, v65
	;; [unrolled: 1-line block ×8, first 2 shown]
	s_waitcnt lgkmcnt(0)
	v_pk_fma_f16 v70, v46, v6, v71
	v_pk_fma_f16 v59, v46, v7, v59
	;; [unrolled: 1-line block ×7, first 2 shown]
	ds_read2_b64 v[42:45], v39 offset0:128 offset1:160
	v_pk_fma_f16 v96, v49, v7, v5
	ds_read2_b64 v[46:49], v39 offset0:192 offset1:224
	s_or_b32 s8, s6, 0x50
	s_mul_hi_i32 s9, s8, s15
	s_mul_i32 s8, s8, s15
	s_lshl_b64 s[8:9], s[8:9], 2
	v_mov_b32_e32 v83, s9
	v_add_co_u32_e32 v87, vcc, s8, v28
	v_mul_u32_u24_sdwa v97, v8, s26 dst_sel:DWORD dst_unused:UNUSED_PAD src0_sel:WORD_0 src1_sel:DWORD
	v_mul_u32_u24_sdwa v98, v8, s26 dst_sel:DWORD dst_unused:UNUSED_PAD src0_sel:WORD_1 src1_sel:DWORD
	v_addc_co_u32_e32 v88, vcc, v29, v83, vcc
	s_waitcnt lgkmcnt(1)
	v_pk_fma_f16 v99, v42, v97, v63
	v_pk_fma_f16 v100, v42, v98, v64
	;; [unrolled: 1-line block ×8, first 2 shown]
	s_waitcnt lgkmcnt(0)
	v_pk_fma_f16 v106, v46, v97, v70
	v_pk_fma_f16 v46, v46, v98, v59
	ds_read2_b64 v[5:8], v41 offset1:32
	ds_read2_b64 v[42:45], v41 offset0:64 offset1:96
	ds_read2_b64 v[59:62], v41 offset0:128 offset1:160
	;; [unrolled: 1-line block ×3, first 2 shown]
	ds_read2_b64 v[67:70], v40 offset1:32
	ds_read2_b64 v[71:74], v40 offset0:64 offset1:96
	ds_read2_b64 v[75:78], v40 offset0:128 offset1:160
	;; [unrolled: 1-line block ×3, first 2 shown]
	s_waitcnt lgkmcnt(0)
	s_barrier
	global_load_dwordx4 v[83:86], v[87:88], off
	s_nop 0
	global_load_dwordx4 v[87:90], v[87:88], off offset:512
	v_pk_fma_f16 v91, v47, v97, v91
	v_pk_fma_f16 v47, v47, v98, v92
	v_pk_fma_f16 v92, v48, v97, v93
	v_pk_fma_f16 v48, v48, v98, v94
	v_pk_fma_f16 v93, v49, v97, v95
	v_pk_fma_f16 v49, v49, v98, v96
	v_mul_u32_u24_sdwa v94, v1, s26 dst_sel:DWORD dst_unused:UNUSED_PAD src0_sel:WORD_0 src1_sel:DWORD
	v_mul_u32_u24_sdwa v1, v1, s26 dst_sel:DWORD dst_unused:UNUSED_PAD src0_sel:WORD_1 src1_sel:DWORD
	v_pk_fma_f16 v95, v5, v94, v99
	v_pk_fma_f16 v5, v5, v1, v100
	v_pk_fma_f16 v96, v6, v94, v101
	v_pk_fma_f16 v6, v6, v1, v102
	v_pk_fma_f16 v50, v7, v94, v50
	v_pk_fma_f16 v7, v7, v1, v103
	v_pk_fma_f16 v97, v8, v94, v104
	v_pk_fma_f16 v8, v8, v1, v105
	v_pk_fma_f16 v98, v42, v94, v106
	v_pk_fma_f16 v42, v42, v1, v46
	v_pk_fma_f16 v46, v43, v94, v91
	v_pk_fma_f16 v43, v43, v1, v47
	v_pk_fma_f16 v47, v44, v94, v92
	v_pk_fma_f16 v44, v44, v1, v48
	v_pk_fma_f16 v48, v45, v94, v93
	v_pk_fma_f16 v1, v45, v1, v49
	v_mul_u32_u24_sdwa v45, v2, s26 dst_sel:DWORD dst_unused:UNUSED_PAD src0_sel:WORD_0 src1_sel:DWORD
	v_mul_u32_u24_sdwa v2, v2, s26 dst_sel:DWORD dst_unused:UNUSED_PAD src0_sel:WORD_1 src1_sel:DWORD
	v_pk_fma_f16 v49, v59, v45, v95
	v_pk_fma_f16 v5, v59, v2, v5
	v_pk_fma_f16 v59, v60, v45, v96
	v_pk_fma_f16 v6, v60, v2, v6
	v_pk_fma_f16 v50, v61, v45, v50
	v_pk_fma_f16 v7, v61, v2, v7
	v_pk_fma_f16 v60, v62, v45, v97
	v_pk_fma_f16 v8, v62, v2, v8
	v_pk_fma_f16 v61, v63, v45, v98
	v_pk_fma_f16 v42, v63, v2, v42
	;; [unrolled: 18-line block ×4, first 2 shown]
	v_pk_fma_f16 v76, v80, v3, v46
	v_pk_fma_f16 v77, v80, v4, v43
	;; [unrolled: 1-line block ×6, first 2 shown]
	s_waitcnt vmcnt(1)
	ds_write_b128 v25, v[83:86]
	s_waitcnt vmcnt(0)
	ds_write_b128 v26, v[87:90]
	s_waitcnt lgkmcnt(0)
	s_barrier
	ds_read2_b64 v[42:45], v27 offset1:32
	ds_read_b128 v[46:49], v24 offset:320
	ds_read2_b64 v[59:62], v27 offset0:64 offset1:96
	ds_read_b128 v[63:66], v24 offset:336
	ds_read_b128 v[5:8], v24 offset:352
	;; [unrolled: 1-line block ×3, first 2 shown]
	s_waitcnt lgkmcnt(4)
	v_mul_u32_u24_sdwa v82, v46, s26 dst_sel:DWORD dst_unused:UNUSED_PAD src0_sel:WORD_0 src1_sel:DWORD
	v_mul_u32_u24_sdwa v46, v46, s26 dst_sel:DWORD dst_unused:UNUSED_PAD src0_sel:WORD_1 src1_sel:DWORD
	v_pk_fma_f16 v67, v42, v82, v67
	v_pk_fma_f16 v68, v42, v46, v68
	v_pk_fma_f16 v69, v43, v82, v69
	v_pk_fma_f16 v70, v43, v46, v70
	v_pk_fma_f16 v50, v44, v82, v50
	v_pk_fma_f16 v71, v44, v46, v71
	v_pk_fma_f16 v72, v45, v82, v72
	v_pk_fma_f16 v73, v45, v46, v73
	s_waitcnt lgkmcnt(3)
	v_pk_fma_f16 v74, v59, v82, v74
	v_pk_fma_f16 v75, v59, v46, v75
	v_pk_fma_f16 v76, v60, v82, v76
	v_pk_fma_f16 v77, v60, v46, v77
	v_pk_fma_f16 v78, v61, v82, v78
	v_pk_fma_f16 v79, v61, v46, v79
	v_pk_fma_f16 v80, v62, v82, v80
	ds_read2_b64 v[42:45], v27 offset0:128 offset1:160
	v_pk_fma_f16 v46, v62, v46, v81
	ds_read2_b64 v[59:62], v27 offset0:192 offset1:224
	v_mul_u32_u24_sdwa v81, v47, s26 dst_sel:DWORD dst_unused:UNUSED_PAD src0_sel:WORD_0 src1_sel:DWORD
	v_mul_u32_u24_sdwa v47, v47, s26 dst_sel:DWORD dst_unused:UNUSED_PAD src0_sel:WORD_1 src1_sel:DWORD
	s_waitcnt lgkmcnt(1)
	v_pk_fma_f16 v67, v42, v81, v67
	v_pk_fma_f16 v68, v42, v47, v68
	v_pk_fma_f16 v69, v43, v81, v69
	v_pk_fma_f16 v70, v43, v47, v70
	v_pk_fma_f16 v50, v44, v81, v50
	v_pk_fma_f16 v71, v44, v47, v71
	v_pk_fma_f16 v72, v45, v81, v72
	v_pk_fma_f16 v73, v45, v47, v73
	s_waitcnt lgkmcnt(0)
	v_pk_fma_f16 v74, v59, v81, v74
	v_pk_fma_f16 v75, v59, v47, v75
	v_pk_fma_f16 v76, v60, v81, v76
	v_pk_fma_f16 v77, v60, v47, v77
	v_pk_fma_f16 v78, v61, v81, v78
	v_pk_fma_f16 v79, v61, v47, v79
	v_pk_fma_f16 v80, v62, v81, v80
	ds_read2_b64 v[42:45], v35 offset1:32
	v_pk_fma_f16 v46, v62, v47, v46
	ds_read2_b64 v[59:62], v35 offset0:64 offset1:96
	v_mul_u32_u24_sdwa v47, v48, s26 dst_sel:DWORD dst_unused:UNUSED_PAD src0_sel:WORD_0 src1_sel:DWORD
	v_mul_u32_u24_sdwa v48, v48, s26 dst_sel:DWORD dst_unused:UNUSED_PAD src0_sel:WORD_1 src1_sel:DWORD
	s_waitcnt lgkmcnt(1)
	v_pk_fma_f16 v67, v42, v47, v67
	v_pk_fma_f16 v68, v42, v48, v68
	v_pk_fma_f16 v69, v43, v47, v69
	v_pk_fma_f16 v70, v43, v48, v70
	v_pk_fma_f16 v50, v44, v47, v50
	v_pk_fma_f16 v71, v44, v48, v71
	v_pk_fma_f16 v72, v45, v47, v72
	v_pk_fma_f16 v73, v45, v48, v73
	s_waitcnt lgkmcnt(0)
	v_pk_fma_f16 v74, v59, v47, v74
	v_pk_fma_f16 v75, v59, v48, v75
	v_pk_fma_f16 v76, v60, v47, v76
	v_pk_fma_f16 v77, v60, v48, v77
	v_pk_fma_f16 v78, v61, v47, v78
	v_pk_fma_f16 v79, v61, v48, v79
	v_pk_fma_f16 v47, v62, v47, v80
	ds_read2_b64 v[42:45], v35 offset0:128 offset1:160
	v_pk_fma_f16 v46, v62, v48, v46
	ds_read2_b64 v[59:62], v35 offset0:192 offset1:224
	v_mul_u32_u24_sdwa v48, v49, s26 dst_sel:DWORD dst_unused:UNUSED_PAD src0_sel:WORD_0 src1_sel:DWORD
	v_mul_u32_u24_sdwa v49, v49, s26 dst_sel:DWORD dst_unused:UNUSED_PAD src0_sel:WORD_1 src1_sel:DWORD
	s_waitcnt lgkmcnt(1)
	v_pk_fma_f16 v67, v42, v48, v67
	v_pk_fma_f16 v68, v42, v49, v68
	v_pk_fma_f16 v69, v43, v48, v69
	v_pk_fma_f16 v70, v43, v49, v70
	v_pk_fma_f16 v50, v44, v48, v50
	v_pk_fma_f16 v71, v44, v49, v71
	v_pk_fma_f16 v72, v45, v48, v72
	v_pk_fma_f16 v73, v45, v49, v73
	s_waitcnt lgkmcnt(0)
	v_pk_fma_f16 v74, v59, v48, v74
	v_pk_fma_f16 v59, v59, v49, v75
	v_pk_fma_f16 v75, v60, v48, v76
	v_pk_fma_f16 v60, v60, v49, v77
	v_pk_fma_f16 v76, v61, v48, v78
	v_pk_fma_f16 v61, v61, v49, v79
	v_pk_fma_f16 v77, v62, v48, v47
	ds_read2_b64 v[42:45], v36 offset1:32
	v_pk_fma_f16 v62, v62, v49, v46
	ds_read2_b64 v[46:49], v36 offset0:64 offset1:96
	v_mul_u32_u24_sdwa v78, v63, s26 dst_sel:DWORD dst_unused:UNUSED_PAD src0_sel:WORD_0 src1_sel:DWORD
	v_mul_u32_u24_sdwa v63, v63, s26 dst_sel:DWORD dst_unused:UNUSED_PAD src0_sel:WORD_1 src1_sel:DWORD
	s_waitcnt lgkmcnt(1)
	;; [unrolled: 44-line block ×5, first 2 shown]
	v_pk_fma_f16 v63, v42, v6, v64
	v_pk_fma_f16 v64, v42, v7, v65
	;; [unrolled: 1-line block ×8, first 2 shown]
	s_waitcnt lgkmcnt(0)
	v_pk_fma_f16 v70, v46, v6, v71
	v_pk_fma_f16 v59, v46, v7, v59
	;; [unrolled: 1-line block ×7, first 2 shown]
	ds_read2_b64 v[42:45], v39 offset0:128 offset1:160
	v_pk_fma_f16 v96, v49, v7, v5
	ds_read2_b64 v[46:49], v39 offset0:192 offset1:224
	s_or_b32 s8, s6, 0x60
	s_mul_hi_i32 s9, s8, s15
	s_mul_i32 s8, s8, s15
	s_lshl_b64 s[8:9], s[8:9], 2
	v_mov_b32_e32 v83, s9
	v_add_co_u32_e32 v87, vcc, s8, v28
	v_mul_u32_u24_sdwa v97, v8, s26 dst_sel:DWORD dst_unused:UNUSED_PAD src0_sel:WORD_0 src1_sel:DWORD
	v_mul_u32_u24_sdwa v98, v8, s26 dst_sel:DWORD dst_unused:UNUSED_PAD src0_sel:WORD_1 src1_sel:DWORD
	v_addc_co_u32_e32 v88, vcc, v29, v83, vcc
	s_waitcnt lgkmcnt(1)
	v_pk_fma_f16 v99, v42, v97, v63
	v_pk_fma_f16 v100, v42, v98, v64
	;; [unrolled: 1-line block ×8, first 2 shown]
	s_waitcnt lgkmcnt(0)
	v_pk_fma_f16 v106, v46, v97, v70
	v_pk_fma_f16 v46, v46, v98, v59
	ds_read2_b64 v[5:8], v41 offset1:32
	ds_read2_b64 v[42:45], v41 offset0:64 offset1:96
	ds_read2_b64 v[59:62], v41 offset0:128 offset1:160
	;; [unrolled: 1-line block ×3, first 2 shown]
	ds_read2_b64 v[67:70], v40 offset1:32
	ds_read2_b64 v[71:74], v40 offset0:64 offset1:96
	ds_read2_b64 v[75:78], v40 offset0:128 offset1:160
	;; [unrolled: 1-line block ×3, first 2 shown]
	s_waitcnt lgkmcnt(0)
	s_barrier
	global_load_dwordx4 v[83:86], v[87:88], off
	s_nop 0
	global_load_dwordx4 v[87:90], v[87:88], off offset:512
	v_pk_fma_f16 v91, v47, v97, v91
	v_pk_fma_f16 v47, v47, v98, v92
	v_pk_fma_f16 v92, v48, v97, v93
	v_pk_fma_f16 v48, v48, v98, v94
	v_pk_fma_f16 v93, v49, v97, v95
	v_pk_fma_f16 v49, v49, v98, v96
	v_mul_u32_u24_sdwa v94, v1, s26 dst_sel:DWORD dst_unused:UNUSED_PAD src0_sel:WORD_0 src1_sel:DWORD
	v_mul_u32_u24_sdwa v1, v1, s26 dst_sel:DWORD dst_unused:UNUSED_PAD src0_sel:WORD_1 src1_sel:DWORD
	v_pk_fma_f16 v95, v5, v94, v99
	v_pk_fma_f16 v5, v5, v1, v100
	v_pk_fma_f16 v96, v6, v94, v101
	v_pk_fma_f16 v6, v6, v1, v102
	v_pk_fma_f16 v50, v7, v94, v50
	v_pk_fma_f16 v7, v7, v1, v103
	v_pk_fma_f16 v97, v8, v94, v104
	v_pk_fma_f16 v8, v8, v1, v105
	v_pk_fma_f16 v98, v42, v94, v106
	v_pk_fma_f16 v42, v42, v1, v46
	v_pk_fma_f16 v46, v43, v94, v91
	v_pk_fma_f16 v43, v43, v1, v47
	v_pk_fma_f16 v47, v44, v94, v92
	v_pk_fma_f16 v44, v44, v1, v48
	v_pk_fma_f16 v48, v45, v94, v93
	v_pk_fma_f16 v1, v45, v1, v49
	v_mul_u32_u24_sdwa v45, v2, s26 dst_sel:DWORD dst_unused:UNUSED_PAD src0_sel:WORD_0 src1_sel:DWORD
	v_mul_u32_u24_sdwa v2, v2, s26 dst_sel:DWORD dst_unused:UNUSED_PAD src0_sel:WORD_1 src1_sel:DWORD
	v_pk_fma_f16 v49, v59, v45, v95
	v_pk_fma_f16 v5, v59, v2, v5
	v_pk_fma_f16 v59, v60, v45, v96
	v_pk_fma_f16 v6, v60, v2, v6
	v_pk_fma_f16 v50, v61, v45, v50
	v_pk_fma_f16 v7, v61, v2, v7
	v_pk_fma_f16 v60, v62, v45, v97
	v_pk_fma_f16 v8, v62, v2, v8
	v_pk_fma_f16 v61, v63, v45, v98
	v_pk_fma_f16 v42, v63, v2, v42
	;; [unrolled: 18-line block ×4, first 2 shown]
	v_pk_fma_f16 v76, v80, v3, v46
	v_pk_fma_f16 v77, v80, v4, v43
	;; [unrolled: 1-line block ×6, first 2 shown]
	s_waitcnt vmcnt(1)
	ds_write_b128 v25, v[83:86]
	s_waitcnt vmcnt(0)
	ds_write_b128 v26, v[87:90]
	s_waitcnt lgkmcnt(0)
	s_barrier
	ds_read2_b64 v[42:45], v27 offset1:32
	ds_read_b128 v[46:49], v24 offset:384
	ds_read2_b64 v[59:62], v27 offset0:64 offset1:96
	ds_read_b128 v[63:66], v24 offset:400
	ds_read_b128 v[5:8], v24 offset:416
	;; [unrolled: 1-line block ×3, first 2 shown]
	s_waitcnt lgkmcnt(4)
	v_mul_u32_u24_sdwa v82, v46, s26 dst_sel:DWORD dst_unused:UNUSED_PAD src0_sel:WORD_0 src1_sel:DWORD
	v_mul_u32_u24_sdwa v46, v46, s26 dst_sel:DWORD dst_unused:UNUSED_PAD src0_sel:WORD_1 src1_sel:DWORD
	v_pk_fma_f16 v67, v42, v82, v67
	v_pk_fma_f16 v68, v42, v46, v68
	v_pk_fma_f16 v69, v43, v82, v69
	v_pk_fma_f16 v70, v43, v46, v70
	v_pk_fma_f16 v50, v44, v82, v50
	v_pk_fma_f16 v71, v44, v46, v71
	v_pk_fma_f16 v72, v45, v82, v72
	v_pk_fma_f16 v73, v45, v46, v73
	s_waitcnt lgkmcnt(3)
	v_pk_fma_f16 v74, v59, v82, v74
	v_pk_fma_f16 v75, v59, v46, v75
	v_pk_fma_f16 v76, v60, v82, v76
	v_pk_fma_f16 v77, v60, v46, v77
	v_pk_fma_f16 v78, v61, v82, v78
	v_pk_fma_f16 v79, v61, v46, v79
	v_pk_fma_f16 v80, v62, v82, v80
	ds_read2_b64 v[42:45], v27 offset0:128 offset1:160
	v_pk_fma_f16 v46, v62, v46, v81
	ds_read2_b64 v[59:62], v27 offset0:192 offset1:224
	v_mul_u32_u24_sdwa v81, v47, s26 dst_sel:DWORD dst_unused:UNUSED_PAD src0_sel:WORD_0 src1_sel:DWORD
	v_mul_u32_u24_sdwa v47, v47, s26 dst_sel:DWORD dst_unused:UNUSED_PAD src0_sel:WORD_1 src1_sel:DWORD
	s_waitcnt lgkmcnt(1)
	v_pk_fma_f16 v67, v42, v81, v67
	v_pk_fma_f16 v68, v42, v47, v68
	v_pk_fma_f16 v69, v43, v81, v69
	v_pk_fma_f16 v70, v43, v47, v70
	v_pk_fma_f16 v50, v44, v81, v50
	v_pk_fma_f16 v71, v44, v47, v71
	v_pk_fma_f16 v72, v45, v81, v72
	v_pk_fma_f16 v73, v45, v47, v73
	s_waitcnt lgkmcnt(0)
	v_pk_fma_f16 v74, v59, v81, v74
	v_pk_fma_f16 v75, v59, v47, v75
	v_pk_fma_f16 v76, v60, v81, v76
	v_pk_fma_f16 v77, v60, v47, v77
	v_pk_fma_f16 v78, v61, v81, v78
	v_pk_fma_f16 v79, v61, v47, v79
	v_pk_fma_f16 v80, v62, v81, v80
	ds_read2_b64 v[42:45], v35 offset1:32
	v_pk_fma_f16 v46, v62, v47, v46
	ds_read2_b64 v[59:62], v35 offset0:64 offset1:96
	v_mul_u32_u24_sdwa v47, v48, s26 dst_sel:DWORD dst_unused:UNUSED_PAD src0_sel:WORD_0 src1_sel:DWORD
	v_mul_u32_u24_sdwa v48, v48, s26 dst_sel:DWORD dst_unused:UNUSED_PAD src0_sel:WORD_1 src1_sel:DWORD
	s_waitcnt lgkmcnt(1)
	v_pk_fma_f16 v67, v42, v47, v67
	v_pk_fma_f16 v68, v42, v48, v68
	v_pk_fma_f16 v69, v43, v47, v69
	v_pk_fma_f16 v70, v43, v48, v70
	v_pk_fma_f16 v50, v44, v47, v50
	v_pk_fma_f16 v71, v44, v48, v71
	v_pk_fma_f16 v72, v45, v47, v72
	v_pk_fma_f16 v73, v45, v48, v73
	s_waitcnt lgkmcnt(0)
	v_pk_fma_f16 v74, v59, v47, v74
	v_pk_fma_f16 v75, v59, v48, v75
	v_pk_fma_f16 v76, v60, v47, v76
	v_pk_fma_f16 v77, v60, v48, v77
	v_pk_fma_f16 v78, v61, v47, v78
	v_pk_fma_f16 v79, v61, v48, v79
	v_pk_fma_f16 v47, v62, v47, v80
	ds_read2_b64 v[42:45], v35 offset0:128 offset1:160
	v_pk_fma_f16 v46, v62, v48, v46
	ds_read2_b64 v[59:62], v35 offset0:192 offset1:224
	v_mul_u32_u24_sdwa v48, v49, s26 dst_sel:DWORD dst_unused:UNUSED_PAD src0_sel:WORD_0 src1_sel:DWORD
	v_mul_u32_u24_sdwa v49, v49, s26 dst_sel:DWORD dst_unused:UNUSED_PAD src0_sel:WORD_1 src1_sel:DWORD
	s_waitcnt lgkmcnt(1)
	v_pk_fma_f16 v67, v42, v48, v67
	v_pk_fma_f16 v68, v42, v49, v68
	v_pk_fma_f16 v69, v43, v48, v69
	v_pk_fma_f16 v70, v43, v49, v70
	v_pk_fma_f16 v50, v44, v48, v50
	v_pk_fma_f16 v71, v44, v49, v71
	v_pk_fma_f16 v72, v45, v48, v72
	v_pk_fma_f16 v73, v45, v49, v73
	s_waitcnt lgkmcnt(0)
	v_pk_fma_f16 v74, v59, v48, v74
	v_pk_fma_f16 v59, v59, v49, v75
	v_pk_fma_f16 v75, v60, v48, v76
	v_pk_fma_f16 v60, v60, v49, v77
	v_pk_fma_f16 v76, v61, v48, v78
	v_pk_fma_f16 v61, v61, v49, v79
	v_pk_fma_f16 v77, v62, v48, v47
	ds_read2_b64 v[42:45], v36 offset1:32
	v_pk_fma_f16 v62, v62, v49, v46
	ds_read2_b64 v[46:49], v36 offset0:64 offset1:96
	v_mul_u32_u24_sdwa v78, v63, s26 dst_sel:DWORD dst_unused:UNUSED_PAD src0_sel:WORD_0 src1_sel:DWORD
	v_mul_u32_u24_sdwa v63, v63, s26 dst_sel:DWORD dst_unused:UNUSED_PAD src0_sel:WORD_1 src1_sel:DWORD
	s_waitcnt lgkmcnt(1)
	;; [unrolled: 44-line block ×5, first 2 shown]
	v_pk_fma_f16 v63, v42, v6, v64
	v_pk_fma_f16 v64, v42, v7, v65
	;; [unrolled: 1-line block ×8, first 2 shown]
	s_waitcnt lgkmcnt(0)
	v_pk_fma_f16 v70, v46, v6, v71
	v_pk_fma_f16 v59, v46, v7, v59
	;; [unrolled: 1-line block ×7, first 2 shown]
	ds_read2_b64 v[42:45], v39 offset0:128 offset1:160
	v_pk_fma_f16 v96, v49, v7, v5
	ds_read2_b64 v[46:49], v39 offset0:192 offset1:224
	s_or_b32 s8, s6, 0x70
	s_mul_hi_i32 s9, s8, s15
	s_mul_i32 s8, s8, s15
	s_lshl_b64 s[8:9], s[8:9], 2
	v_mov_b32_e32 v83, s9
	v_add_co_u32_e32 v87, vcc, s8, v28
	v_mul_u32_u24_sdwa v97, v8, s26 dst_sel:DWORD dst_unused:UNUSED_PAD src0_sel:WORD_0 src1_sel:DWORD
	v_mul_u32_u24_sdwa v98, v8, s26 dst_sel:DWORD dst_unused:UNUSED_PAD src0_sel:WORD_1 src1_sel:DWORD
	v_addc_co_u32_e32 v88, vcc, v29, v83, vcc
	s_waitcnt lgkmcnt(1)
	v_pk_fma_f16 v99, v42, v97, v63
	v_pk_fma_f16 v100, v42, v98, v64
	v_pk_fma_f16 v101, v43, v97, v65
	v_pk_fma_f16 v102, v43, v98, v66
	v_pk_fma_f16 v50, v44, v97, v50
	v_pk_fma_f16 v103, v44, v98, v67
	v_pk_fma_f16 v104, v45, v97, v68
	v_pk_fma_f16 v105, v45, v98, v69
	s_waitcnt lgkmcnt(0)
	v_pk_fma_f16 v106, v46, v97, v70
	v_pk_fma_f16 v46, v46, v98, v59
	ds_read2_b64 v[5:8], v41 offset1:32
	ds_read2_b64 v[42:45], v41 offset0:64 offset1:96
	ds_read2_b64 v[59:62], v41 offset0:128 offset1:160
	ds_read2_b64 v[63:66], v41 offset0:192 offset1:224
	ds_read2_b64 v[67:70], v40 offset1:32
	ds_read2_b64 v[71:74], v40 offset0:64 offset1:96
	ds_read2_b64 v[75:78], v40 offset0:128 offset1:160
	;; [unrolled: 1-line block ×3, first 2 shown]
	s_waitcnt lgkmcnt(0)
	s_barrier
	global_load_dwordx4 v[83:86], v[87:88], off
	s_nop 0
	global_load_dwordx4 v[87:90], v[87:88], off offset:512
	v_pk_fma_f16 v91, v47, v97, v91
	v_pk_fma_f16 v47, v47, v98, v92
	v_pk_fma_f16 v92, v48, v97, v93
	v_pk_fma_f16 v48, v48, v98, v94
	v_pk_fma_f16 v93, v49, v97, v95
	v_pk_fma_f16 v49, v49, v98, v96
	v_mul_u32_u24_sdwa v94, v1, s26 dst_sel:DWORD dst_unused:UNUSED_PAD src0_sel:WORD_0 src1_sel:DWORD
	v_mul_u32_u24_sdwa v1, v1, s26 dst_sel:DWORD dst_unused:UNUSED_PAD src0_sel:WORD_1 src1_sel:DWORD
	v_pk_fma_f16 v95, v5, v94, v99
	v_pk_fma_f16 v5, v5, v1, v100
	v_pk_fma_f16 v96, v6, v94, v101
	v_pk_fma_f16 v6, v6, v1, v102
	v_pk_fma_f16 v50, v7, v94, v50
	v_pk_fma_f16 v7, v7, v1, v103
	v_pk_fma_f16 v97, v8, v94, v104
	v_pk_fma_f16 v8, v8, v1, v105
	v_pk_fma_f16 v98, v42, v94, v106
	v_pk_fma_f16 v42, v42, v1, v46
	v_pk_fma_f16 v46, v43, v94, v91
	v_pk_fma_f16 v43, v43, v1, v47
	v_pk_fma_f16 v47, v44, v94, v92
	v_pk_fma_f16 v44, v44, v1, v48
	v_pk_fma_f16 v48, v45, v94, v93
	v_pk_fma_f16 v1, v45, v1, v49
	v_mul_u32_u24_sdwa v45, v2, s26 dst_sel:DWORD dst_unused:UNUSED_PAD src0_sel:WORD_0 src1_sel:DWORD
	v_mul_u32_u24_sdwa v2, v2, s26 dst_sel:DWORD dst_unused:UNUSED_PAD src0_sel:WORD_1 src1_sel:DWORD
	v_pk_fma_f16 v49, v59, v45, v95
	v_pk_fma_f16 v5, v59, v2, v5
	v_pk_fma_f16 v59, v60, v45, v96
	v_pk_fma_f16 v6, v60, v2, v6
	v_pk_fma_f16 v50, v61, v45, v50
	v_pk_fma_f16 v7, v61, v2, v7
	v_pk_fma_f16 v60, v62, v45, v97
	v_pk_fma_f16 v8, v62, v2, v8
	v_pk_fma_f16 v61, v63, v45, v98
	v_pk_fma_f16 v42, v63, v2, v42
	;; [unrolled: 18-line block ×4, first 2 shown]
	v_pk_fma_f16 v76, v80, v3, v46
	v_pk_fma_f16 v77, v80, v4, v43
	;; [unrolled: 1-line block ×6, first 2 shown]
	s_waitcnt vmcnt(1)
	ds_write_b128 v25, v[83:86]
	s_waitcnt vmcnt(0)
	ds_write_b128 v26, v[87:90]
	s_waitcnt lgkmcnt(0)
	s_barrier
	ds_read2_b64 v[42:45], v27 offset1:32
	ds_read_b128 v[46:49], v24 offset:448
	ds_read2_b64 v[59:62], v27 offset0:64 offset1:96
	ds_read_b128 v[63:66], v24 offset:464
	ds_read_b128 v[5:8], v24 offset:480
	;; [unrolled: 1-line block ×3, first 2 shown]
	s_waitcnt lgkmcnt(4)
	v_mul_u32_u24_sdwa v82, v46, s26 dst_sel:DWORD dst_unused:UNUSED_PAD src0_sel:WORD_0 src1_sel:DWORD
	v_mul_u32_u24_sdwa v46, v46, s26 dst_sel:DWORD dst_unused:UNUSED_PAD src0_sel:WORD_1 src1_sel:DWORD
	v_pk_fma_f16 v67, v42, v82, v67
	v_pk_fma_f16 v68, v42, v46, v68
	v_pk_fma_f16 v69, v43, v82, v69
	v_pk_fma_f16 v70, v43, v46, v70
	v_pk_fma_f16 v50, v44, v82, v50
	v_pk_fma_f16 v71, v44, v46, v71
	v_pk_fma_f16 v72, v45, v82, v72
	v_pk_fma_f16 v73, v45, v46, v73
	s_waitcnt lgkmcnt(3)
	v_pk_fma_f16 v74, v59, v82, v74
	v_pk_fma_f16 v75, v59, v46, v75
	v_pk_fma_f16 v76, v60, v82, v76
	v_pk_fma_f16 v77, v60, v46, v77
	v_pk_fma_f16 v78, v61, v82, v78
	v_pk_fma_f16 v79, v61, v46, v79
	v_pk_fma_f16 v80, v62, v82, v80
	ds_read2_b64 v[42:45], v27 offset0:128 offset1:160
	v_pk_fma_f16 v46, v62, v46, v81
	ds_read2_b64 v[59:62], v27 offset0:192 offset1:224
	v_mul_u32_u24_sdwa v81, v47, s26 dst_sel:DWORD dst_unused:UNUSED_PAD src0_sel:WORD_0 src1_sel:DWORD
	v_mul_u32_u24_sdwa v47, v47, s26 dst_sel:DWORD dst_unused:UNUSED_PAD src0_sel:WORD_1 src1_sel:DWORD
	s_waitcnt lgkmcnt(1)
	v_pk_fma_f16 v67, v42, v81, v67
	v_pk_fma_f16 v68, v42, v47, v68
	v_pk_fma_f16 v69, v43, v81, v69
	v_pk_fma_f16 v70, v43, v47, v70
	v_pk_fma_f16 v50, v44, v81, v50
	v_pk_fma_f16 v71, v44, v47, v71
	v_pk_fma_f16 v72, v45, v81, v72
	v_pk_fma_f16 v73, v45, v47, v73
	s_waitcnt lgkmcnt(0)
	v_pk_fma_f16 v74, v59, v81, v74
	v_pk_fma_f16 v75, v59, v47, v75
	v_pk_fma_f16 v76, v60, v81, v76
	v_pk_fma_f16 v77, v60, v47, v77
	v_pk_fma_f16 v78, v61, v81, v78
	v_pk_fma_f16 v79, v61, v47, v79
	v_pk_fma_f16 v80, v62, v81, v80
	ds_read2_b64 v[42:45], v35 offset1:32
	v_pk_fma_f16 v46, v62, v47, v46
	ds_read2_b64 v[59:62], v35 offset0:64 offset1:96
	v_mul_u32_u24_sdwa v47, v48, s26 dst_sel:DWORD dst_unused:UNUSED_PAD src0_sel:WORD_0 src1_sel:DWORD
	v_mul_u32_u24_sdwa v48, v48, s26 dst_sel:DWORD dst_unused:UNUSED_PAD src0_sel:WORD_1 src1_sel:DWORD
	s_waitcnt lgkmcnt(1)
	v_pk_fma_f16 v67, v42, v47, v67
	v_pk_fma_f16 v68, v42, v48, v68
	v_pk_fma_f16 v69, v43, v47, v69
	v_pk_fma_f16 v70, v43, v48, v70
	v_pk_fma_f16 v50, v44, v47, v50
	v_pk_fma_f16 v71, v44, v48, v71
	v_pk_fma_f16 v72, v45, v47, v72
	v_pk_fma_f16 v73, v45, v48, v73
	s_waitcnt lgkmcnt(0)
	v_pk_fma_f16 v74, v59, v47, v74
	v_pk_fma_f16 v75, v59, v48, v75
	v_pk_fma_f16 v76, v60, v47, v76
	v_pk_fma_f16 v77, v60, v48, v77
	v_pk_fma_f16 v78, v61, v47, v78
	v_pk_fma_f16 v79, v61, v48, v79
	v_pk_fma_f16 v47, v62, v47, v80
	ds_read2_b64 v[42:45], v35 offset0:128 offset1:160
	v_pk_fma_f16 v46, v62, v48, v46
	ds_read2_b64 v[59:62], v35 offset0:192 offset1:224
	v_mul_u32_u24_sdwa v35, v49, s26 dst_sel:DWORD dst_unused:UNUSED_PAD src0_sel:WORD_0 src1_sel:DWORD
	v_mul_u32_u24_sdwa v48, v49, s26 dst_sel:DWORD dst_unused:UNUSED_PAD src0_sel:WORD_1 src1_sel:DWORD
	s_waitcnt lgkmcnt(1)
	v_pk_fma_f16 v67, v42, v35, v67
	v_pk_fma_f16 v68, v42, v48, v68
	v_pk_fma_f16 v69, v43, v35, v69
	v_pk_fma_f16 v70, v43, v48, v70
	v_pk_fma_f16 v50, v44, v35, v50
	v_pk_fma_f16 v71, v44, v48, v71
	v_pk_fma_f16 v72, v45, v35, v72
	v_pk_fma_f16 v73, v45, v48, v73
	s_waitcnt lgkmcnt(0)
	v_pk_fma_f16 v74, v59, v35, v74
	v_pk_fma_f16 v59, v59, v48, v75
	v_pk_fma_f16 v75, v60, v35, v76
	v_pk_fma_f16 v60, v60, v48, v77
	v_pk_fma_f16 v76, v61, v35, v78
	v_pk_fma_f16 v61, v61, v48, v79
	v_pk_fma_f16 v35, v62, v35, v47
	ds_read2_b64 v[42:45], v36 offset1:32
	v_pk_fma_f16 v62, v62, v48, v46
	ds_read2_b64 v[46:49], v36 offset0:64 offset1:96
	v_mul_u32_u24_sdwa v77, v63, s26 dst_sel:DWORD dst_unused:UNUSED_PAD src0_sel:WORD_0 src1_sel:DWORD
	v_mul_u32_u24_sdwa v63, v63, s26 dst_sel:DWORD dst_unused:UNUSED_PAD src0_sel:WORD_1 src1_sel:DWORD
	s_waitcnt lgkmcnt(1)
	;; [unrolled: 44-line block ×7, first 2 shown]
	v_pk_fma_f16 v41, v5, v2, v41
	v_pk_fma_f16 v42, v5, v3, v42
	;; [unrolled: 1-line block ×8, first 2 shown]
	s_waitcnt lgkmcnt(0)
	v_pk_fma_f16 v68, v36, v3, v47
	v_pk_fma_f16 v69, v37, v3, v48
	ds_read2_b64 v[5:8], v40 offset0:128 offset1:160
	ds_read2_b64 v[47:50], v40 offset0:192 offset1:224
	s_waitcnt lgkmcnt(0)
	s_barrier
	s_load_dword s8, s[0:1], 0x4
	v_pk_fma_f16 v63, v35, v2, v63
	v_pk_fma_f16 v67, v35, v3, v46
	;; [unrolled: 1-line block ×4, first 2 shown]
	s_waitcnt lgkmcnt(0)
	s_lshl_b32 s8, s8, 7
	v_pk_fma_f16 v2, v38, v2, v39
	v_pk_fma_f16 v1, v38, v3, v1
	v_mul_u32_u24_sdwa v3, v4, s26 dst_sel:DWORD dst_unused:UNUSED_PAD src0_sel:WORD_0 src1_sel:DWORD
	v_mul_u32_u24_sdwa v4, v4, s26 dst_sel:DWORD dst_unused:UNUSED_PAD src0_sel:WORD_1 src1_sel:DWORD
	s_add_i32 s6, s8, s6
	v_pk_fma_f16 v39, v5, v3, v41
	v_pk_fma_f16 v35, v5, v4, v42
	;; [unrolled: 1-line block ×15, first 2 shown]
	s_cmp_ge_i32 s6, s28
	v_pk_fma_f16 v5, v50, v4, v1
	s_cbranch_scc1 .LBB23_11
; %bb.49:                               ;   in Loop: Header=BB23_16 Depth=1
	v_mov_b32_e32 v50, v14
	v_mov_b32_e32 v48, v15
	;; [unrolled: 1-line block ×4, first 2 shown]
	s_branch .LBB23_16
.LBB23_50:
	v_mov_b32_e32 v4, v2
	v_mov_b32_e32 v3, v1
	v_cmp_gt_i32_e32 vcc, s2, v16
	s_and_saveexec_b64 s[0:1], vcc
	s_cbranch_execz .LBB23_13
.LBB23_51:
	s_load_dword s6, s[4:5], 0xd4
	v_mov_b32_e32 v9, 1.0
	s_waitcnt lgkmcnt(0)
	s_cmp_lg_u32 s6, 1
	s_cselect_b64 s[0:1], -1, 0
	s_cmp_eq_u32 s6, 1
	s_cselect_b64 s[4:5], -1, 0
	s_and_b64 vcc, exec, s[0:1]
	s_cbranch_vccnz .LBB23_53
; %bb.52:
	v_div_scale_f32 v9, s[8:9], v1, v1, 1.0
	v_div_scale_f32 v10, vcc, 1.0, v1, 1.0
	v_rcp_f32_e32 v11, v9
	v_fma_f32 v12, -v9, v11, 1.0
	v_fmac_f32_e32 v11, v12, v11
	v_mul_f32_e32 v12, v10, v11
	v_fma_f32 v13, -v9, v12, v10
	v_fmac_f32_e32 v12, v13, v11
	v_fma_f32 v9, -v9, v12, v10
	v_div_fmas_f32 v9, v9, v11, v12
	v_div_fixup_f32 v9, v9, v1, 1.0
.LBB23_53:
	s_mul_i32 s33, s33, s2
	v_add_u32_e32 v1, s33, v16
	v_mul_lo_u32 v1, v1, s3
	v_cmp_eq_u32_e32 vcc, 0, v0
	v_cvt_f32_f16_sdwa v10, v46 dst_sel:DWORD dst_unused:UNUSED_PAD src0_sel:WORD_1
	v_cvt_f32_f16_e32 v11, v46
	v_add3_u32 v0, s29, v17, v1
	v_mul_lo_u32 v0, s6, v0
	v_cvt_f32_f16_e32 v17, v39
	v_cvt_f32_f16_sdwa v1, v39 dst_sel:DWORD dst_unused:UNUSED_PAD src0_sel:WORD_1
	v_mul_f32_e32 v13, v9, v10
	v_add_u32_e32 v0, s7, v0
	v_lshl_add_u32 v16, v0, 9, v18
	v_mul_f32_e32 v10, v9, v17
	v_mov_b32_e32 v17, 0
	v_lshlrev_b64 v[19:20], 2, v[16:17]
	s_and_b64 s[0:1], vcc, s[0:1]
	v_mul_f32_e32 v12, v9, v11
	v_mul_f32_e32 v11, v9, v1
	v_mov_b32_e32 v1, s21
	v_add_co_u32_e32 v19, vcc, s20, v19
	v_addc_co_u32_e32 v20, vcc, v1, v20, vcc
	global_store_dwordx4 v[19:20], v[10:13], off
	v_cvt_f32_f16_e32 v19, v44
	v_cvt_f32_f16_e32 v10, v45
	v_cvt_f32_f16_sdwa v1, v45 dst_sel:DWORD dst_unused:UNUSED_PAD src0_sel:WORD_1
	v_cvt_f32_f16_sdwa v11, v44 dst_sel:DWORD dst_unused:UNUSED_PAD src0_sel:WORD_1
	v_mov_b32_e32 v20, v17
	v_mul_f32_e32 v12, v9, v10
	v_mul_f32_e32 v10, v9, v19
	v_add_u32_e32 v19, 0x80, v16
	v_lshlrev_b64 v[19:20], 2, v[19:20]
	v_mul_f32_e32 v13, v9, v1
	v_mov_b32_e32 v1, s21
	v_add_co_u32_e32 v19, vcc, s20, v19
	v_mul_f32_e32 v11, v9, v11
	v_addc_co_u32_e32 v20, vcc, v1, v20, vcc
	global_store_dwordx4 v[19:20], v[10:13], off
	v_cvt_f32_f16_e32 v19, v42
	v_cvt_f32_f16_e32 v10, v43
	v_cvt_f32_f16_sdwa v1, v43 dst_sel:DWORD dst_unused:UNUSED_PAD src0_sel:WORD_1
	v_cvt_f32_f16_sdwa v11, v42 dst_sel:DWORD dst_unused:UNUSED_PAD src0_sel:WORD_1
	v_mov_b32_e32 v20, v17
	v_mul_f32_e32 v12, v9, v10
	v_mul_f32_e32 v10, v9, v19
	v_add_u32_e32 v19, 0x100, v16
	v_lshlrev_b64 v[19:20], 2, v[19:20]
	v_mul_f32_e32 v13, v9, v1
	v_mov_b32_e32 v1, s21
	v_add_co_u32_e32 v19, vcc, s20, v19
	v_mul_f32_e32 v11, v9, v11
	v_addc_co_u32_e32 v20, vcc, v1, v20, vcc
	v_cvt_f32_f16_sdwa v1, v41 dst_sel:DWORD dst_unused:UNUSED_PAD src0_sel:WORD_1
	global_store_dwordx4 v[19:20], v[10:13], off
	v_cvt_f32_f16_e32 v19, v40
	v_cvt_f32_f16_e32 v10, v41
	v_cvt_f32_f16_sdwa v13, v40 dst_sel:DWORD dst_unused:UNUSED_PAD src0_sel:WORD_1
	v_add_u32_e32 v16, 0x180, v16
	v_lshlrev_b64 v[16:17], 2, v[16:17]
	v_mul_f32_e32 v12, v9, v1
	v_mov_b32_e32 v1, s21
	v_add_co_u32_e32 v16, vcc, s20, v16
	v_mul_f32_e32 v11, v9, v10
	v_mul_f32_e32 v10, v9, v13
	;; [unrolled: 1-line block ×3, first 2 shown]
	v_addc_co_u32_e32 v17, vcc, v1, v17, vcc
	global_store_dwordx4 v[16:17], v[9:12], off
	s_and_saveexec_b64 s[2:3], s[0:1]
	s_cbranch_execz .LBB23_55
; %bb.54:
	v_ashrrev_i32_e32 v1, 31, v0
	v_lshlrev_b64 v[9:10], 3, v[0:1]
	v_mov_b32_e32 v1, s23
	v_add_co_u32_e32 v9, vcc, s22, v9
	v_addc_co_u32_e32 v10, vcc, v1, v10, vcc
	v_mov_b32_e32 v11, v14
	v_mov_b32_e32 v12, v3
	global_store_dwordx2 v[9:10], v[11:12], off
.LBB23_55:
	s_or_b64 exec, exec, s[2:3]
	s_andn2_b64 vcc, exec, s[4:5]
	v_mov_b32_e32 v1, 1.0
	s_cbranch_vccnz .LBB23_57
; %bb.56:
	v_div_scale_f32 v1, s[2:3], v2, v2, 1.0
	v_div_scale_f32 v3, vcc, 1.0, v2, 1.0
	v_rcp_f32_e32 v9, v1
	v_fma_f32 v10, -v1, v9, 1.0
	v_fmac_f32_e32 v9, v10, v9
	v_mul_f32_e32 v10, v3, v9
	v_fma_f32 v11, -v1, v10, v3
	v_fmac_f32_e32 v10, v11, v9
	v_fma_f32 v1, -v1, v10, v3
	v_div_fmas_f32 v1, v1, v9, v10
	v_div_fixup_f32 v1, v1, v2, 1.0
.LBB23_57:
	v_cvt_f32_f16_sdwa v3, v38 dst_sel:DWORD dst_unused:UNUSED_PAD src0_sel:WORD_1
	v_cvt_f32_f16_e32 v9, v38
	v_cvt_f32_f16_e32 v13, v35
	v_add_u32_e32 v0, s6, v0
	v_lshl_add_u32 v2, v0, 9, v18
	v_cvt_f32_f16_sdwa v10, v35 dst_sel:DWORD dst_unused:UNUSED_PAD src0_sel:WORD_1
	v_mul_f32_e32 v12, v1, v3
	v_mov_b32_e32 v3, 0
	v_mul_f32_e32 v11, v1, v9
	v_mul_f32_e32 v9, v1, v13
	v_lshlrev_b64 v[13:14], 2, v[2:3]
	v_mov_b32_e32 v16, s21
	v_add_co_u32_e32 v13, vcc, s20, v13
	v_mul_f32_e32 v10, v1, v10
	v_addc_co_u32_e32 v14, vcc, v16, v14, vcc
	global_store_dwordx4 v[13:14], v[9:12], off
	v_cvt_f32_f16_sdwa v13, v36 dst_sel:DWORD dst_unused:UNUSED_PAD src0_sel:WORD_1
	v_cvt_f32_f16_sdwa v9, v37 dst_sel:DWORD dst_unused:UNUSED_PAD src0_sel:WORD_1
	v_cvt_f32_f16_e32 v10, v37
	v_cvt_f32_f16_e32 v14, v36
	v_mul_f32_e32 v12, v1, v9
	v_mul_f32_e32 v11, v1, v10
	;; [unrolled: 1-line block ×4, first 2 shown]
	v_add_u32_e32 v13, 0x80, v2
	v_mov_b32_e32 v14, v3
	v_lshlrev_b64 v[13:14], 2, v[13:14]
	v_add_co_u32_e32 v13, vcc, s20, v13
	v_addc_co_u32_e32 v14, vcc, v16, v14, vcc
	global_store_dwordx4 v[13:14], v[9:12], off
	v_mov_b32_e32 v13, s21
	v_cvt_f32_f16_sdwa v9, v8 dst_sel:DWORD dst_unused:UNUSED_PAD src0_sel:WORD_1
	v_cvt_f32_f16_e32 v8, v8
	v_cvt_f32_f16_sdwa v11, v7 dst_sel:DWORD dst_unused:UNUSED_PAD src0_sel:WORD_1
	v_cvt_f32_f16_e32 v7, v7
	v_mul_f32_e32 v10, v1, v9
	v_mul_f32_e32 v9, v1, v8
	;; [unrolled: 1-line block ×3, first 2 shown]
	v_add_u32_e32 v11, 0x100, v2
	v_mov_b32_e32 v12, v3
	v_lshlrev_b64 v[11:12], 2, v[11:12]
	v_mul_f32_e32 v7, v1, v7
	v_add_co_u32_e32 v11, vcc, s20, v11
	v_addc_co_u32_e32 v12, vcc, v13, v12, vcc
	global_store_dwordx4 v[11:12], v[7:10], off
	v_add_u32_e32 v2, 0x180, v2
	v_cvt_f32_f16_sdwa v7, v5 dst_sel:DWORD dst_unused:UNUSED_PAD src0_sel:WORD_1
	v_cvt_f32_f16_e32 v5, v5
	v_cvt_f32_f16_sdwa v9, v6 dst_sel:DWORD dst_unused:UNUSED_PAD src0_sel:WORD_1
	v_cvt_f32_f16_e32 v10, v6
	v_mul_f32_e32 v8, v1, v7
	v_mul_f32_e32 v7, v1, v5
	;; [unrolled: 1-line block ×4, first 2 shown]
	v_lshlrev_b64 v[1:2], 2, v[2:3]
	v_mov_b32_e32 v3, s21
	v_add_co_u32_e32 v1, vcc, s20, v1
	v_addc_co_u32_e32 v2, vcc, v3, v2, vcc
	global_store_dwordx4 v[1:2], v[5:8], off
	s_and_b64 exec, exec, s[0:1]
	s_cbranch_execz .LBB23_13
; %bb.58:
	v_ashrrev_i32_e32 v1, 31, v0
	v_lshlrev_b64 v[0:1], 3, v[0:1]
	v_mov_b32_e32 v2, s23
	v_add_co_u32_e32 v0, vcc, s22, v0
	v_addc_co_u32_e32 v1, vcc, v2, v1, vcc
	v_mov_b32_e32 v3, v15
	global_store_dwordx2 v[0:1], v[3:4], off
	s_endpgm
	.section	.rodata,"a",@progbits
	.p2align	6, 0x0
	.amdhsa_kernel _ZL15flash_attn_tileILi576ELi512ELi2ELi16ELb1EEvPKcS1_S1_S1_S1_PKiPfP15HIP_vector_typeIfLj2EEffffjfiS5_IjLj3EEiiiiiiiiiiiliiliiiiil
		.amdhsa_group_segment_fixed_size 63488
		.amdhsa_private_segment_fixed_size 0
		.amdhsa_kernarg_size 464
		.amdhsa_user_sgpr_count 6
		.amdhsa_user_sgpr_private_segment_buffer 1
		.amdhsa_user_sgpr_dispatch_ptr 0
		.amdhsa_user_sgpr_queue_ptr 0
		.amdhsa_user_sgpr_kernarg_segment_ptr 1
		.amdhsa_user_sgpr_dispatch_id 0
		.amdhsa_user_sgpr_flat_scratch_init 0
		.amdhsa_user_sgpr_private_segment_size 0
		.amdhsa_uses_dynamic_stack 0
		.amdhsa_system_sgpr_private_segment_wavefront_offset 0
		.amdhsa_system_sgpr_workgroup_id_x 1
		.amdhsa_system_sgpr_workgroup_id_y 1
		.amdhsa_system_sgpr_workgroup_id_z 1
		.amdhsa_system_sgpr_workgroup_info 0
		.amdhsa_system_vgpr_workitem_id 1
		.amdhsa_next_free_vgpr 109
		.amdhsa_next_free_sgpr 98
		.amdhsa_reserve_vcc 1
		.amdhsa_reserve_flat_scratch 0
		.amdhsa_float_round_mode_32 0
		.amdhsa_float_round_mode_16_64 0
		.amdhsa_float_denorm_mode_32 3
		.amdhsa_float_denorm_mode_16_64 3
		.amdhsa_dx10_clamp 1
		.amdhsa_ieee_mode 1
		.amdhsa_fp16_overflow 0
		.amdhsa_exception_fp_ieee_invalid_op 0
		.amdhsa_exception_fp_denorm_src 0
		.amdhsa_exception_fp_ieee_div_zero 0
		.amdhsa_exception_fp_ieee_overflow 0
		.amdhsa_exception_fp_ieee_underflow 0
		.amdhsa_exception_fp_ieee_inexact 0
		.amdhsa_exception_int_div_zero 0
	.end_amdhsa_kernel
	.section	.text._ZL15flash_attn_tileILi576ELi512ELi2ELi16ELb1EEvPKcS1_S1_S1_S1_PKiPfP15HIP_vector_typeIfLj2EEffffjfiS5_IjLj3EEiiiiiiiiiiiliiliiiiil,"axG",@progbits,_ZL15flash_attn_tileILi576ELi512ELi2ELi16ELb1EEvPKcS1_S1_S1_S1_PKiPfP15HIP_vector_typeIfLj2EEffffjfiS5_IjLj3EEiiiiiiiiiiiliiliiiiil,comdat
.Lfunc_end23:
	.size	_ZL15flash_attn_tileILi576ELi512ELi2ELi16ELb1EEvPKcS1_S1_S1_S1_PKiPfP15HIP_vector_typeIfLj2EEffffjfiS5_IjLj3EEiiiiiiiiiiiliiliiiiil, .Lfunc_end23-_ZL15flash_attn_tileILi576ELi512ELi2ELi16ELb1EEvPKcS1_S1_S1_S1_PKiPfP15HIP_vector_typeIfLj2EEffffjfiS5_IjLj3EEiiiiiiiiiiiliiliiiiil
                                        ; -- End function
	.set _ZL15flash_attn_tileILi576ELi512ELi2ELi16ELb1EEvPKcS1_S1_S1_S1_PKiPfP15HIP_vector_typeIfLj2EEffffjfiS5_IjLj3EEiiiiiiiiiiiliiliiiiil.num_vgpr, 109
	.set _ZL15flash_attn_tileILi576ELi512ELi2ELi16ELb1EEvPKcS1_S1_S1_S1_PKiPfP15HIP_vector_typeIfLj2EEffffjfiS5_IjLj3EEiiiiiiiiiiiliiliiiiil.num_agpr, 0
	.set _ZL15flash_attn_tileILi576ELi512ELi2ELi16ELb1EEvPKcS1_S1_S1_S1_PKiPfP15HIP_vector_typeIfLj2EEffffjfiS5_IjLj3EEiiiiiiiiiiiliiliiiiil.numbered_sgpr, 44
	.set _ZL15flash_attn_tileILi576ELi512ELi2ELi16ELb1EEvPKcS1_S1_S1_S1_PKiPfP15HIP_vector_typeIfLj2EEffffjfiS5_IjLj3EEiiiiiiiiiiiliiliiiiil.num_named_barrier, 0
	.set _ZL15flash_attn_tileILi576ELi512ELi2ELi16ELb1EEvPKcS1_S1_S1_S1_PKiPfP15HIP_vector_typeIfLj2EEffffjfiS5_IjLj3EEiiiiiiiiiiiliiliiiiil.private_seg_size, 0
	.set _ZL15flash_attn_tileILi576ELi512ELi2ELi16ELb1EEvPKcS1_S1_S1_S1_PKiPfP15HIP_vector_typeIfLj2EEffffjfiS5_IjLj3EEiiiiiiiiiiiliiliiiiil.uses_vcc, 1
	.set _ZL15flash_attn_tileILi576ELi512ELi2ELi16ELb1EEvPKcS1_S1_S1_S1_PKiPfP15HIP_vector_typeIfLj2EEffffjfiS5_IjLj3EEiiiiiiiiiiiliiliiiiil.uses_flat_scratch, 0
	.set _ZL15flash_attn_tileILi576ELi512ELi2ELi16ELb1EEvPKcS1_S1_S1_S1_PKiPfP15HIP_vector_typeIfLj2EEffffjfiS5_IjLj3EEiiiiiiiiiiiliiliiiiil.has_dyn_sized_stack, 0
	.set _ZL15flash_attn_tileILi576ELi512ELi2ELi16ELb1EEvPKcS1_S1_S1_S1_PKiPfP15HIP_vector_typeIfLj2EEffffjfiS5_IjLj3EEiiiiiiiiiiiliiliiiiil.has_recursion, 0
	.set _ZL15flash_attn_tileILi576ELi512ELi2ELi16ELb1EEvPKcS1_S1_S1_S1_PKiPfP15HIP_vector_typeIfLj2EEffffjfiS5_IjLj3EEiiiiiiiiiiiliiliiiiil.has_indirect_call, 0
	.section	.AMDGPU.csdata,"",@progbits
; Kernel info:
; codeLenInByte = 52776
; TotalNumSgprs: 48
; NumVgprs: 109
; ScratchSize: 0
; MemoryBound: 0
; FloatMode: 240
; IeeeMode: 1
; LDSByteSize: 63488 bytes/workgroup (compile time only)
; SGPRBlocks: 12
; VGPRBlocks: 27
; NumSGPRsForWavesPerEU: 102
; NumVGPRsForWavesPerEU: 109
; Occupancy: 2
; WaveLimiterHint : 1
; COMPUTE_PGM_RSRC2:SCRATCH_EN: 0
; COMPUTE_PGM_RSRC2:USER_SGPR: 6
; COMPUTE_PGM_RSRC2:TRAP_HANDLER: 0
; COMPUTE_PGM_RSRC2:TGID_X_EN: 1
; COMPUTE_PGM_RSRC2:TGID_Y_EN: 1
; COMPUTE_PGM_RSRC2:TGID_Z_EN: 1
; COMPUTE_PGM_RSRC2:TIDIG_COMP_CNT: 1
	.section	.text._ZL15flash_attn_tileILi576ELi512ELi1ELi16ELb1EEvPKcS1_S1_S1_S1_PKiPfP15HIP_vector_typeIfLj2EEffffjfiS5_IjLj3EEiiiiiiiiiiiliiliiiiil,"axG",@progbits,_ZL15flash_attn_tileILi576ELi512ELi1ELi16ELb1EEvPKcS1_S1_S1_S1_PKiPfP15HIP_vector_typeIfLj2EEffffjfiS5_IjLj3EEiiiiiiiiiiiliiliiiiil,comdat
	.globl	_ZL15flash_attn_tileILi576ELi512ELi1ELi16ELb1EEvPKcS1_S1_S1_S1_PKiPfP15HIP_vector_typeIfLj2EEffffjfiS5_IjLj3EEiiiiiiiiiiiliiliiiiil ; -- Begin function _ZL15flash_attn_tileILi576ELi512ELi1ELi16ELb1EEvPKcS1_S1_S1_S1_PKiPfP15HIP_vector_typeIfLj2EEffffjfiS5_IjLj3EEiiiiiiiiiiiliiliiiiil
	.p2align	8
	.type	_ZL15flash_attn_tileILi576ELi512ELi1ELi16ELb1EEvPKcS1_S1_S1_S1_PKiPfP15HIP_vector_typeIfLj2EEffffjfiS5_IjLj3EEiiiiiiiiiiiliiliiiiil,@function
_ZL15flash_attn_tileILi576ELi512ELi1ELi16ELb1EEvPKcS1_S1_S1_S1_PKiPfP15HIP_vector_typeIfLj2EEffffjfiS5_IjLj3EEiiiiiiiiiiiliiliiiiil: ; @_ZL15flash_attn_tileILi576ELi512ELi1ELi16ELb1EEvPKcS1_S1_S1_S1_PKiPfP15HIP_vector_typeIfLj2EEffffjfiS5_IjLj3EEiiiiiiiiiiiliiliiiiil
; %bb.0:
	s_load_dwordx4 s[0:3], s[4:5], 0x5c
	s_load_dwordx2 s[28:29], s[4:5], 0x80
	s_load_dwordx2 s[34:35], s[4:5], 0xb8
	s_mov_b64 s[30:31], 0
	s_waitcnt lgkmcnt(0)
	s_ashr_i32 s9, s3, 31
	s_lshr_b32 s9, s9, 28
	s_add_i32 s9, s3, s9
	s_ashr_i32 s9, s9, 4
	v_cvt_f32_u32_e32 v2, s9
	s_sub_i32 s10, 0, s9
	v_rcp_iflag_f32_e32 v2, v2
	v_mul_f32_e32 v2, 0x4f7ffffe, v2
	v_cvt_u32_f32_e32 v2, v2
	v_readfirstlane_b32 s11, v2
	s_mul_i32 s10, s10, s11
	s_mul_hi_u32 s10, s11, s10
	s_add_i32 s11, s11, s10
	s_mul_hi_u32 s10, s8, s11
	s_mul_i32 s11, s10, s9
	s_sub_i32 s11, s8, s11
	s_add_i32 s12, s10, 1
	s_sub_i32 s13, s11, s9
	s_cmp_ge_u32 s11, s9
	s_cselect_b32 s10, s12, s10
	s_cselect_b32 s11, s13, s11
	s_add_i32 s12, s10, 1
	s_cmp_ge_u32 s11, s9
	s_cselect_b32 s33, s12, s10
	s_abs_i32 s9, s29
	v_cvt_f32_u32_e32 v2, s9
	s_lshl_b32 s8, s8, 4
	s_mul_i32 s12, s33, s3
	s_xor_b32 s10, s3, s29
	v_rcp_iflag_f32_e32 v2, v2
	s_sub_i32 s13, 0, s9
	s_sub_i32 s29, s8, s12
	s_abs_i32 s11, s3
	v_mul_f32_e32 v2, 0x4f7ffffe, v2
	v_cvt_u32_f32_e32 v2, v2
	s_ashr_i32 s10, s10, 31
	v_readfirstlane_b32 s8, v2
	s_mul_i32 s13, s13, s8
	s_mul_hi_u32 s12, s8, s13
	s_add_i32 s8, s8, s12
	s_mul_hi_u32 s8, s11, s8
	s_mul_i32 s12, s8, s9
	s_sub_i32 s11, s11, s12
	s_add_i32 s13, s8, 1
	s_sub_i32 s12, s11, s9
	s_cmp_ge_u32 s11, s9
	s_cselect_b32 s8, s13, s8
	s_cselect_b32 s11, s12, s11
	s_add_i32 s12, s8, 1
	s_cmp_ge_u32 s11, s9
	s_cselect_b32 s8, s12, s8
	s_xor_b32 s8, s8, s10
	s_sub_i32 s37, s8, s10
	s_abs_i32 s36, s37
	v_cvt_f32_u32_e32 v2, s36
	s_load_dwordx16 s[8:23], s[4:5], 0x0
	v_rcp_iflag_f32_e32 v2, v2
	s_waitcnt lgkmcnt(0)
	s_cmp_eq_u64 s[14:15], 0
	v_mul_f32_e32 v2, 0x4f7ffffe, v2
	v_cvt_u32_f32_e32 v2, v2
	v_readfirstlane_b32 s24, v2
	s_cbranch_scc1 .LBB24_2
; %bb.1:
	s_abs_i32 s25, s34
	v_cvt_f32_u32_e32 v2, s25
	s_sub_i32 s34, 0, s25
	s_abs_i32 s31, s33
	s_ashr_i32 s30, s33, 31
	v_rcp_iflag_f32_e32 v2, v2
	s_load_dwordx2 s[26:27], s[4:5], 0xc8
	v_mul_f32_e32 v2, 0x4f7ffffe, v2
	v_cvt_u32_f32_e32 v2, v2
	v_readfirstlane_b32 s38, v2
	s_mul_i32 s34, s34, s38
	s_mul_hi_u32 s34, s38, s34
	s_add_i32 s38, s38, s34
	s_mul_hi_u32 s34, s31, s38
	s_mul_i32 s34, s34, s25
	s_sub_i32 s31, s31, s34
	s_sub_i32 s34, s31, s25
	s_cmp_ge_u32 s31, s25
	s_cselect_b32 s31, s34, s31
	s_sub_i32 s34, s31, s25
	s_cmp_ge_u32 s31, s25
	s_cselect_b32 s25, s34, s31
	s_xor_b32 s25, s25, s30
	s_sub_i32 s25, s25, s30
	s_ashr_i32 s30, s25, 31
	s_waitcnt lgkmcnt(0)
	s_mul_hi_u32 s31, s26, s25
	s_mul_i32 s30, s26, s30
	s_mul_i32 s27, s27, s25
	s_add_i32 s30, s31, s30
	s_add_i32 s27, s30, s27
	s_mul_i32 s25, s26, s25
	s_add_u32 s30, s14, s25
	s_addc_u32 s31, s15, s27
.LBB24_2:
	v_lshrrev_b32_e32 v2, 3, v1
	s_load_dwordx4 s[40:43], s[4:5], 0x70
	v_add_u32_e32 v12, s6, v2
	v_mul_hi_u32 v2, s0, v12
	v_lshlrev_b32_e32 v5, 1, v1
	v_and_b32_e32 v14, 14, v5
	s_waitcnt lgkmcnt(0)
	s_mul_i32 s0, s33, s42
	v_add_u32_e32 v2, v12, v2
	s_ashr_i32 s15, s0, 31
	v_lshrrev_b32_e32 v2, s1, v2
	s_mul_i32 s14, s29, s41
	s_add_u32 s0, s8, s0
	v_mul_lo_u32 v2, v2, s2
	s_addc_u32 s8, s9, s15
	s_ashr_i32 s9, s14, 31
	s_add_u32 s25, s0, s14
	s_addc_u32 s14, s8, s9
	s_ashr_i32 s9, s41, 31
	s_mov_b32 s8, s41
	s_ashr_i32 s41, s40, 31
	v_sub_u32_e32 v4, v12, v2
	s_lshr_b64 s[0:1], s[40:41], 2
	v_mad_u64_u32 v[2:3], s[0:1], s0, v4, 0
	s_lshr_b32 s0, s41, 2
	v_mul_u32_u24_e32 v15, 0x900, v1
	v_mad_u64_u32 v[6:7], s[0:1], s0, v4, v[3:4]
	s_lshr_b64 s[0:1], s[8:9], 2
	s_lshr_b32 s8, s9, 2
	v_mov_b32_e32 v3, v6
	v_mov_b32_e32 v6, s14
	v_mad_u64_u32 v[9:10], s[14:15], s0, v14, 0
	v_lshlrev_b64 v[2:3], 2, v[2:3]
	s_load_dword s14, s[4:5], 0x40
	v_add_co_u32_e32 v7, vcc, s25, v2
	v_mov_b32_e32 v2, v10
	v_addc_co_u32_e32 v8, vcc, v6, v3, vcc
	v_mad_u64_u32 v[2:3], s[8:9], s8, v14, v[2:3]
	v_lshlrev_b32_e32 v6, 4, v0
	v_add_co_u32_e32 v6, vcc, v7, v6
	v_mov_b32_e32 v10, v2
	v_lshlrev_b64 v[2:3], 2, v[9:10]
	v_addc_co_u32_e32 v8, vcc, 0, v8, vcc
	v_add_co_u32_e32 v2, vcc, v6, v2
	v_addc_co_u32_e32 v3, vcc, v8, v3, vcc
	global_load_dwordx4 v[16:19], v[2:3], off
	global_load_dwordx4 v[20:23], v[2:3], off offset:512
	global_load_dwordx4 v[24:27], v[2:3], off offset:1024
	;; [unrolled: 1-line block ×3, first 2 shown]
	v_lshlrev_b32_e32 v7, 3, v0
	s_movk_i32 s8, 0x900
	v_mad_u32_u24 v11, v1, s8, v7
	v_cmp_gt_u32_e32 vcc, 16, v0
	s_waitcnt vmcnt(3) lgkmcnt(0)
	v_fma_mixlo_f16 v9, s14, v16, 0
	v_fma_mixlo_f16 v10, s14, v17, 0
	;; [unrolled: 1-line block ×4, first 2 shown]
	s_waitcnt vmcnt(2)
	v_fma_mixlo_f16 v17, s14, v20, 0
	v_fma_mixlo_f16 v18, s14, v21, 0
	;; [unrolled: 1-line block ×4, first 2 shown]
	s_waitcnt vmcnt(1)
	v_fma_mixlo_f16 v21, s14, v24, 0
	v_fma_mixlo_f16 v22, s14, v25, 0
	;; [unrolled: 1-line block ×3, first 2 shown]
	s_waitcnt vmcnt(0)
	v_fma_mixlo_f16 v25, s14, v28, 0
	v_fma_mixlo_f16 v26, s14, v29, 0
	v_lshlrev_b32_e32 v10, 16, v10
	v_and_b32_e32 v9, 0xffff, v9
	v_lshlrev_b32_e32 v16, 16, v16
	v_and_b32_e32 v13, 0xffff, v13
	;; [unrolled: 2-line block ×3, first 2 shown]
	v_fma_mixlo_f16 v24, s14, v27, 0
	v_fma_mixlo_f16 v27, s14, v30, 0
	;; [unrolled: 1-line block ×3, first 2 shown]
	v_lshlrev_b32_e32 v20, 16, v20
	v_and_b32_e32 v19, 0xffff, v19
	v_lshlrev_b32_e32 v22, 16, v22
	v_and_b32_e32 v21, 0xffff, v21
	;; [unrolled: 2-line block ×3, first 2 shown]
	v_or_b32_e32 v9, v10, v9
	v_or3_b32 v10, v16, v13, 0
	v_or_b32_e32 v13, v18, v17
	v_lshlrev_b32_e32 v24, 16, v24
	v_and_b32_e32 v23, 0xffff, v23
	v_lshlrev_b32_e32 v28, 16, v28
	v_and_b32_e32 v27, 0xffff, v27
	v_or3_b32 v17, v20, v19, 0
	v_or_b32_e32 v18, v22, v21
	v_or_b32_e32 v20, v26, v25
	v_or3_b32 v9, 0, 0, v9
	v_or3_b32 v16, 0, 0, v13
	;; [unrolled: 1-line block ×6, first 2 shown]
	ds_write2_b64 v11, v[9:10], v[16:17] offset1:32
	ds_write2_b64 v11, v[18:19], v[20:21] offset0:64 offset1:96
	s_and_saveexec_b64 s[8:9], vcc
	s_cbranch_execz .LBB24_4
; %bb.3:
	global_load_dwordx4 v[16:19], v[2:3], off offset:2048
	s_waitcnt vmcnt(0)
	v_fma_mixlo_f16 v2, s14, v16, 0
	v_fma_mixlo_f16 v3, s14, v17, 0
	;; [unrolled: 1-line block ×4, first 2 shown]
	v_lshlrev_b32_e32 v3, 16, v3
	v_and_b32_e32 v2, 0xffff, v2
	v_lshlrev_b32_e32 v10, 16, v10
	v_and_b32_e32 v9, 0xffff, v9
	v_or_b32_e32 v2, v3, v2
	v_or3_b32 v3, v10, v9, 0
	v_or3_b32 v2, 0, 0, v2
	v_add_u32_e32 v9, v7, v15
	ds_write_b64 v9, v[2:3] offset:1024
.LBB24_4:
	s_or_b64 exec, exec, s[8:9]
	v_or_b32_e32 v5, 1, v5
	v_and_b32_e32 v9, 15, v5
	v_mad_u64_u32 v[2:3], s[8:9], s0, v9, 0
	v_mad_u64_u32 v[9:10], s[0:1], s1, v9, v[3:4]
	v_mov_b32_e32 v3, v9
	v_lshlrev_b64 v[2:3], 2, v[2:3]
	v_add_co_u32_e64 v2, s[0:1], v6, v2
	v_addc_co_u32_e64 v3, s[0:1], v8, v3, s[0:1]
	global_load_dwordx4 v[8:11], v[2:3], off
	global_load_dwordx4 v[16:19], v[2:3], off offset:512
	global_load_dwordx4 v[20:23], v[2:3], off offset:1024
	global_load_dwordx4 v[24:27], v[2:3], off offset:1536
	s_movk_i32 s0, 0x480
	v_mad_u32_u24 v6, v5, s0, v7
	s_waitcnt vmcnt(3)
	v_fma_mixlo_f16 v8, s14, v8, 0
	v_fma_mixlo_f16 v9, s14, v9, 0
	v_fma_mixlo_f16 v10, s14, v10, 0
	v_fma_mixlo_f16 v11, s14, v11, 0
	s_waitcnt vmcnt(2)
	v_fma_mixlo_f16 v13, s14, v16, 0
	v_fma_mixlo_f16 v16, s14, v17, 0
	v_fma_mixlo_f16 v17, s14, v18, 0
	v_fma_mixlo_f16 v18, s14, v19, 0
	;; [unrolled: 5-line block ×3, first 2 shown]
	s_waitcnt vmcnt(0)
	v_fma_mixlo_f16 v23, s14, v24, 0
	v_fma_mixlo_f16 v24, s14, v25, 0
	v_lshlrev_b32_e32 v9, 16, v9
	v_and_b32_e32 v8, 0xffff, v8
	v_lshlrev_b32_e32 v11, 16, v11
	v_and_b32_e32 v10, 0xffff, v10
	;; [unrolled: 2-line block ×3, first 2 shown]
	v_fma_mixlo_f16 v25, s14, v26, 0
	v_fma_mixlo_f16 v26, s14, v27, 0
	v_lshlrev_b32_e32 v18, 16, v18
	v_and_b32_e32 v17, 0xffff, v17
	v_lshlrev_b32_e32 v20, 16, v20
	v_and_b32_e32 v19, 0xffff, v19
	;; [unrolled: 2-line block ×3, first 2 shown]
	v_or_b32_e32 v8, v9, v8
	v_or3_b32 v9, v11, v10, 0
	v_or_b32_e32 v10, v16, v13
	v_lshlrev_b32_e32 v22, 16, v22
	v_and_b32_e32 v21, 0xffff, v21
	v_lshlrev_b32_e32 v26, 16, v26
	v_and_b32_e32 v25, 0xffff, v25
	v_or3_b32 v11, v18, v17, 0
	v_or_b32_e32 v13, v20, v19
	v_or_b32_e32 v18, v24, v23
	v_or3_b32 v8, 0, 0, v8
	v_or3_b32 v10, 0, 0, v10
	;; [unrolled: 1-line block ×6, first 2 shown]
	ds_write2_b64 v6, v[8:9], v[10:11] offset1:32
	ds_write2_b64 v6, v[16:17], v[18:19] offset0:64 offset1:96
	s_and_saveexec_b64 s[0:1], vcc
	s_cbranch_execz .LBB24_6
; %bb.5:
	global_load_dwordx4 v[8:11], v[2:3], off offset:2048
	v_mul_u32_u24_e32 v5, 0x480, v5
	v_add_u32_e32 v5, v7, v5
	s_waitcnt vmcnt(0)
	v_fma_mixlo_f16 v2, s14, v8, 0
	v_fma_mixlo_f16 v3, s14, v9, 0
	;; [unrolled: 1-line block ×4, first 2 shown]
	v_lshlrev_b32_e32 v3, 16, v3
	v_and_b32_e32 v2, 0xffff, v2
	v_lshlrev_b32_e32 v8, 16, v8
	v_and_b32_e32 v6, 0xffff, v6
	v_or_b32_e32 v2, v3, v2
	v_or3_b32 v3, v8, v6, 0
	v_or3_b32 v2, 0, 0, v2
	ds_write_b64 v5, v[2:3] offset:1024
.LBB24_6:
	s_or_b64 exec, exec, s[0:1]
	s_cmp_eq_u64 s[18:19], 0
	s_waitcnt lgkmcnt(0)
	s_barrier
	s_cbranch_scc1 .LBB24_8
; %bb.7:
	s_load_dword s0, s[4:5], 0xd0
	s_mov_b32 s1, 0
	s_waitcnt lgkmcnt(0)
	s_mul_i32 s0, s0, s33
	s_add_i32 s0, s0, s6
	s_lshl_b64 s[0:1], s[0:1], 2
	s_add_u32 s0, s18, s0
	s_addc_u32 s1, s19, s1
	s_load_dword s28, s[0:1], 0x0
.LBB24_8:
	s_lshl_b32 s6, s7, 6
	v_lshlrev_b32_e32 v13, 2, v0
	s_waitcnt lgkmcnt(0)
	s_cmp_lt_i32 s6, s28
	v_mbcnt_lo_u32_b32 v2, -1, 0
	s_cbranch_scc1 .LBB24_14
; %bb.9:
	v_mbcnt_hi_u32_b32 v16, -1, v2
	v_and_b32_e32 v3, 0x60, v16
	v_add_u32_e32 v51, 32, v3
	v_xor_b32_e32 v56, 16, v16
	v_xor_b32_e32 v52, 8, v16
	;; [unrolled: 1-line block ×5, first 2 shown]
	s_cbranch_execz .LBB24_15
; %bb.10:
	v_mov_b32_e32 v39, 0
	v_mov_b32_e32 v58, 0
	;; [unrolled: 1-line block ×20, first 2 shown]
.LBB24_11:
	v_cmp_lt_i32_e32 vcc, v56, v51
	v_cndmask_b32_e32 v1, v16, v56, vcc
	v_lshlrev_b32_e32 v1, 2, v1
	ds_bpermute_b32 v2, v1, v57
	ds_bpermute_b32 v1, v1, v58
	v_cmp_lt_i32_e32 vcc, v52, v51
	v_cndmask_b32_e32 v3, v16, v52, vcc
	v_lshlrev_b32_e32 v3, 2, v3
	s_waitcnt lgkmcnt(1)
	v_add_f32_e32 v2, v57, v2
	s_waitcnt lgkmcnt(0)
	v_add_f32_e32 v1, v58, v1
	ds_bpermute_b32 v4, v3, v2
	ds_bpermute_b32 v3, v3, v1
	v_cmp_lt_i32_e32 vcc, v53, v51
	v_cndmask_b32_e32 v5, v16, v53, vcc
	v_lshlrev_b32_e32 v5, 2, v5
	s_waitcnt lgkmcnt(1)
	v_add_f32_e32 v2, v2, v4
	s_waitcnt lgkmcnt(0)
	v_add_f32_e32 v1, v1, v3
	;; [unrolled: 9-line block ×4, first 2 shown]
	ds_bpermute_b32 v4, v5, v2
	ds_bpermute_b32 v5, v5, v3
	s_cmp_lg_u64 s[16:17], 0
	s_cselect_b64 s[8:9], -1, 0
	s_cmp_eq_u32 s7, 0
	s_cselect_b64 s[10:11], -1, 0
	s_and_b64 s[8:9], s[10:11], s[8:9]
	s_waitcnt lgkmcnt(1)
	v_add_f32_e32 v1, v2, v4
	s_waitcnt lgkmcnt(0)
	v_add_f32_e32 v2, v3, v5
	s_mov_b64 s[0:1], 0
	s_and_b64 vcc, exec, s[8:9]
	v_add_u32_e32 v5, s29, v14
	s_cbranch_vccnz .LBB24_34
; %bb.12:
	v_mov_b32_e32 v4, v2
	v_add_u32_e32 v6, s29, v14
	v_mov_b32_e32 v3, v1
	s_andn2_b64 vcc, exec, s[0:1]
	s_cbranch_vccz .LBB24_35
; %bb.13:
	v_mov_b32_e32 v5, v6
	s_branch .LBB24_36
.LBB24_14:
                                        ; implicit-def: $vgpr16
                                        ; implicit-def: $vgpr51
                                        ; implicit-def: $vgpr56
                                        ; implicit-def: $vgpr52
                                        ; implicit-def: $vgpr53
                                        ; implicit-def: $vgpr54
                                        ; implicit-def: $vgpr55
.LBB24_15:
	s_sub_i32 s0, 0, s36
	s_mul_i32 s0, s0, s24
	s_mul_hi_u32 s0, s24, s0
	s_abs_i32 s19, s29
	s_add_i32 s24, s24, s0
	s_mul_hi_u32 s34, s19, s24
	s_load_dwordx4 s[24:27], s[4:5], 0x98
	s_load_dword s14, s[4:5], 0x54
	s_load_dwordx2 s[0:1], s[4:5], 0x8c
	s_ashr_i32 s38, s29, 31
	s_ashr_i32 s37, s37, 31
	s_waitcnt lgkmcnt(0)
	s_ashr_i32 s15, s26, 2
	s_ashr_i32 s26, s35, 1
	;; [unrolled: 1-line block ×4, first 2 shown]
	s_mul_hi_u32 s35, s24, s33
	s_mul_i32 s39, s24, s0
	s_add_i32 s35, s35, s39
	s_mul_i32 s25, s25, s33
	s_add_i32 s35, s35, s25
	s_mul_i32 s24, s24, s33
	s_add_u32 s10, s10, s24
	s_mul_i32 s25, s34, s36
	s_addc_u32 s11, s11, s35
	s_sub_i32 s19, s19, s25
	s_xor_b32 s24, s38, s37
	s_add_i32 s25, s34, 1
	s_sub_i32 s35, s19, s36
	s_cmp_ge_u32 s19, s36
	s_cselect_b32 s25, s25, s34
	s_cselect_b32 s19, s35, s19
	s_add_i32 s34, s25, 1
	s_cmp_ge_u32 s19, s36
	s_load_dwordx2 s[8:9], s[4:5], 0xa8
	s_cselect_b32 s19, s34, s25
	s_xor_b32 s19, s19, s24
	s_sub_i32 s19, s19, s24
	s_mul_i32 s1, s19, s1
	s_ashr_i32 s24, s1, 31
	s_add_u32 s10, s10, s1
	s_waitcnt lgkmcnt(0)
	s_mul_hi_u32 s1, s8, s33
	s_mul_i32 s0, s8, s0
	s_addc_u32 s11, s11, s24
	s_add_i32 s0, s1, s0
	s_mul_i32 s1, s9, s33
	s_add_i32 s0, s0, s1
	s_mul_i32 s1, s8, s33
	s_add_u32 s1, s12, s1
	s_mul_i32 s19, s19, s27
	s_addc_u32 s0, s13, s0
	s_ashr_i32 s8, s19, 31
	s_add_u32 s9, s1, s19
	v_lshrrev_b32_e32 v3, 3, v0
	v_and_b32_e32 v16, 28, v13
	s_addc_u32 s8, s0, s8
	v_lshl_add_u32 v3, v1, 2, v3
	v_lshlrev_b32_e32 v5, 2, v16
	s_movk_i32 s0, 0x90
	v_mul_lo_u32 v8, s18, v3
	v_mad_u32_u24 v3, v3, s0, v5
	v_add_u32_e32 v17, 0x4800, v3
	v_add_u32_e32 v18, 0x5a00, v3
	v_mov_b32_e32 v3, 0x4800
	v_mad_u32_u24 v19, v0, s0, v3
	v_mov_b32_e32 v3, 0x6c00
	v_lshl_add_u32 v20, v1, 8, v3
	v_mul_lo_u32 v3, s15, v1
	v_mad_u64_u32 v[5:6], s[0:1], v4, s26, v[0:1]
	v_lshl_add_u32 v10, s18, 5, v8
	v_ashrrev_i32_e32 v4, 31, v3
	v_lshlrev_b64 v[3:4], 2, v[3:4]
	v_mov_b32_e32 v22, s8
	v_add_co_u32_e32 v3, vcc, s9, v3
	v_ashrrev_i32_e32 v9, 31, v8
	v_ashrrev_i32_e32 v11, 31, v10
	v_lshlrev_b32_e32 v6, 2, v13
	v_addc_co_u32_e32 v4, vcc, v22, v4, vcc
	v_lshl_add_u32 v1, v1, 10, v6
	v_or_b32_e32 v23, 0x4800, v7
	s_add_u32 s0, s4, 0xd0
	v_add_co_u32_e32 v24, vcc, v3, v6
	v_lshlrev_b64 v[6:7], 2, v[8:9]
	v_lshlrev_b64 v[8:9], 2, v[10:11]
	v_mov_b32_e32 v31, 0
	v_add_u32_e32 v21, 0x4800, v1
	v_add_u32_e32 v22, 0x4a00, v1
	s_addc_u32 s1, s5, 0
	v_addc_co_u32_e32 v25, vcc, 0, v4, vcc
	v_mov_b32_e32 v50, 0xfeffffff
	v_lshlrev_b32_e32 v26, 2, v16
	s_mov_b32 s12, 0x3f200000
	s_mov_b32 s13, 0x3fb8aa3b
	;; [unrolled: 1-line block ×4, first 2 shown]
	v_mov_b32_e32 v27, 0xbd5c1c4e
	v_mov_b32_e32 v28, 0x3e088382
	;; [unrolled: 1-line block ×3, first 2 shown]
	s_brev_b32 s25, -2
	s_mov_b32 s26, 0x10001
	v_mov_b32_e32 v30, 0x7f800000
	v_mbcnt_hi_u32_b32 v16, -1, v2
	v_mov_b32_e32 v32, 0
	v_mov_b32_e32 v34, 0
	;; [unrolled: 1-line block ×18, first 2 shown]
.LBB24_16:                              ; =>This Inner Loop Header: Depth=1
	s_mul_hi_i32 s9, s6, s18
	s_mul_i32 s8, s6, s18
	s_lshl_b64 s[8:9], s[8:9], 2
	s_add_u32 s8, s10, s8
	s_addc_u32 s9, s11, s9
	v_mov_b32_e32 v1, s9
	v_add_co_u32_e32 v2, vcc, s8, v6
	v_addc_co_u32_e32 v3, vcc, v1, v7, vcc
	v_add_co_u32_e32 v1, vcc, v2, v26
	v_addc_co_u32_e32 v2, vcc, 0, v3, vcc
	v_mov_b32_e32 v3, s9
	v_add_co_u32_e32 v4, vcc, s8, v8
	v_addc_co_u32_e32 v10, vcc, v3, v9, vcc
	v_add_co_u32_e32 v3, vcc, v4, v26
	v_addc_co_u32_e32 v4, vcc, 0, v10, vcc
	global_load_dwordx4 v[52:55], v[1:2], off
	global_load_dwordx4 v[56:59], v[3:4], off
	v_mov_b32_e32 v51, 0
	v_mov_b32_e32 v10, 0
	;; [unrolled: 1-line block ×3, first 2 shown]
	s_waitcnt vmcnt(1)
	ds_write_b128 v17, v[52:55]
	s_waitcnt vmcnt(0)
	ds_write_b128 v18, v[56:59]
	s_waitcnt lgkmcnt(0)
	s_barrier
	ds_read_b128 v[53:56], v19
	ds_read_b128 v[57:60], v15
	ds_read_b128 v[61:64], v19 offset:4608
	ds_read_b128 v[65:68], v15 offset:1152
	s_waitcnt lgkmcnt(2)
	;;#ASMSTART
	v_dot2_f32_f16 v51, v53, v57, v51
	;;#ASMEND
	;;#ASMSTART
	v_dot2_f32_f16 v51, v54, v58, v51
	;;#ASMEND
	;; [unrolled: 3-line block ×4, first 2 shown]
	s_waitcnt lgkmcnt(0)
	;;#ASMSTART
	v_dot2_f32_f16 v10, v53, v65, v10
	;;#ASMEND
	;;#ASMSTART
	v_dot2_f32_f16 v10, v54, v66, v10
	;;#ASMEND
	v_mov_b32_e32 v52, 0
	;;#ASMSTART
	v_dot2_f32_f16 v10, v55, v67, v10
	;;#ASMEND
	;;#ASMSTART
	v_dot2_f32_f16 v10, v56, v68, v10
	;;#ASMEND
	;;#ASMSTART
	v_dot2_f32_f16 v52, v61, v57, v52
	;;#ASMEND
	;;#ASMSTART
	v_dot2_f32_f16 v52, v62, v58, v52
	;;#ASMEND
	;;#ASMSTART
	v_dot2_f32_f16 v52, v63, v59, v52
	;;#ASMEND
	;;#ASMSTART
	v_dot2_f32_f16 v52, v64, v60, v52
	;;#ASMEND
	;;#ASMSTART
	v_dot2_f32_f16 v11, v61, v65, v11
	;;#ASMEND
	;;#ASMSTART
	v_dot2_f32_f16 v11, v62, v66, v11
	;;#ASMEND
	;;#ASMSTART
	v_dot2_f32_f16 v11, v63, v67, v11
	;;#ASMEND
	;;#ASMSTART
	v_dot2_f32_f16 v11, v64, v68, v11
	;;#ASMEND
	ds_read_b128 v[53:56], v15 offset:16
	ds_read_b128 v[57:60], v19 offset:16
	ds_read_b128 v[61:64], v19 offset:4624
	ds_read_b128 v[65:68], v15 offset:1168
	s_waitcnt lgkmcnt(2)
	;;#ASMSTART
	v_dot2_f32_f16 v51, v57, v53, v51
	;;#ASMEND
	;;#ASMSTART
	v_dot2_f32_f16 v51, v58, v54, v51
	;;#ASMEND
	;;#ASMSTART
	v_dot2_f32_f16 v51, v59, v55, v51
	;;#ASMEND
	;;#ASMSTART
	v_dot2_f32_f16 v51, v60, v56, v51
	;;#ASMEND
	s_waitcnt lgkmcnt(0)
	;;#ASMSTART
	v_dot2_f32_f16 v10, v57, v65, v10
	;;#ASMEND
	;;#ASMSTART
	v_dot2_f32_f16 v10, v58, v66, v10
	;;#ASMEND
	;;#ASMSTART
	v_dot2_f32_f16 v10, v59, v67, v10
	;;#ASMEND
	;;#ASMSTART
	v_dot2_f32_f16 v10, v60, v68, v10
	;;#ASMEND
	;;#ASMSTART
	v_dot2_f32_f16 v52, v61, v53, v52
	;;#ASMEND
	;;#ASMSTART
	v_dot2_f32_f16 v52, v62, v54, v52
	;;#ASMEND
	;;#ASMSTART
	v_dot2_f32_f16 v52, v63, v55, v52
	;;#ASMEND
	;;#ASMSTART
	v_dot2_f32_f16 v52, v64, v56, v52
	;;#ASMEND
	;;#ASMSTART
	v_dot2_f32_f16 v11, v61, v65, v11
	;;#ASMEND
	;;#ASMSTART
	v_dot2_f32_f16 v11, v62, v66, v11
	;;#ASMEND
	;;#ASMSTART
	v_dot2_f32_f16 v11, v63, v67, v11
	;;#ASMEND
	;;#ASMSTART
	v_dot2_f32_f16 v11, v64, v68, v11
	;;#ASMEND
	ds_read_b128 v[53:56], v15 offset:32
	ds_read_b128 v[57:60], v19 offset:32
	ds_read_b128 v[61:64], v19 offset:4640
	ds_read_b128 v[65:68], v15 offset:1184
	s_waitcnt lgkmcnt(2)
	;;#ASMSTART
	v_dot2_f32_f16 v51, v57, v53, v51
	;;#ASMEND
	;;#ASMSTART
	v_dot2_f32_f16 v51, v58, v54, v51
	;;#ASMEND
	;;#ASMSTART
	v_dot2_f32_f16 v51, v59, v55, v51
	;;#ASMEND
	;;#ASMSTART
	v_dot2_f32_f16 v51, v60, v56, v51
	;;#ASMEND
	s_waitcnt lgkmcnt(0)
	;;#ASMSTART
	v_dot2_f32_f16 v10, v57, v65, v10
	;;#ASMEND
	;;#ASMSTART
	v_dot2_f32_f16 v10, v58, v66, v10
	;;#ASMEND
	;; [unrolled: 54-line block ×7, first 2 shown]
	;;#ASMSTART
	v_dot2_f32_f16 v10, v59, v67, v10
	;;#ASMEND
	;;#ASMSTART
	v_dot2_f32_f16 v10, v60, v68, v10
	;;#ASMEND
	;; [unrolled: 3-line block ×10, first 2 shown]
	s_barrier
	global_load_dwordx4 v[53:56], v[1:2], off offset:128
	global_load_dwordx4 v[57:60], v[3:4], off offset:128
	s_waitcnt vmcnt(1)
	ds_write_b128 v17, v[53:56]
	s_waitcnt vmcnt(0)
	ds_write_b128 v18, v[57:60]
	s_waitcnt lgkmcnt(0)
	s_barrier
	ds_read_b128 v[53:56], v15 offset:128
	ds_read_b128 v[57:60], v19
	ds_read_b128 v[61:64], v19 offset:4608
	ds_read_b128 v[65:68], v15 offset:1280
	s_waitcnt lgkmcnt(2)
	;;#ASMSTART
	v_dot2_f32_f16 v51, v57, v53, v51
	;;#ASMEND
	;;#ASMSTART
	v_dot2_f32_f16 v51, v58, v54, v51
	;;#ASMEND
	;;#ASMSTART
	v_dot2_f32_f16 v51, v59, v55, v51
	;;#ASMEND
	;;#ASMSTART
	v_dot2_f32_f16 v51, v60, v56, v51
	;;#ASMEND
	s_waitcnt lgkmcnt(0)
	;;#ASMSTART
	v_dot2_f32_f16 v10, v57, v65, v10
	;;#ASMEND
	;;#ASMSTART
	v_dot2_f32_f16 v10, v58, v66, v10
	;;#ASMEND
	;;#ASMSTART
	v_dot2_f32_f16 v10, v59, v67, v10
	;;#ASMEND
	;;#ASMSTART
	v_dot2_f32_f16 v10, v60, v68, v10
	;;#ASMEND
	;;#ASMSTART
	v_dot2_f32_f16 v52, v61, v53, v52
	;;#ASMEND
	;;#ASMSTART
	v_dot2_f32_f16 v52, v62, v54, v52
	;;#ASMEND
	;;#ASMSTART
	v_dot2_f32_f16 v52, v63, v55, v52
	;;#ASMEND
	;;#ASMSTART
	v_dot2_f32_f16 v52, v64, v56, v52
	;;#ASMEND
	;;#ASMSTART
	v_dot2_f32_f16 v11, v61, v65, v11
	;;#ASMEND
	;;#ASMSTART
	v_dot2_f32_f16 v11, v62, v66, v11
	;;#ASMEND
	;;#ASMSTART
	v_dot2_f32_f16 v11, v63, v67, v11
	;;#ASMEND
	;;#ASMSTART
	v_dot2_f32_f16 v11, v64, v68, v11
	;;#ASMEND
	ds_read_b128 v[53:56], v15 offset:144
	ds_read_b128 v[57:60], v19 offset:16
	ds_read_b128 v[61:64], v19 offset:4624
	ds_read_b128 v[65:68], v15 offset:1296
	s_waitcnt lgkmcnt(2)
	;;#ASMSTART
	v_dot2_f32_f16 v51, v57, v53, v51
	;;#ASMEND
	;;#ASMSTART
	v_dot2_f32_f16 v51, v58, v54, v51
	;;#ASMEND
	;;#ASMSTART
	v_dot2_f32_f16 v51, v59, v55, v51
	;;#ASMEND
	;;#ASMSTART
	v_dot2_f32_f16 v51, v60, v56, v51
	;;#ASMEND
	s_waitcnt lgkmcnt(0)
	;;#ASMSTART
	v_dot2_f32_f16 v10, v57, v65, v10
	;;#ASMEND
	;;#ASMSTART
	v_dot2_f32_f16 v10, v58, v66, v10
	;;#ASMEND
	;;#ASMSTART
	v_dot2_f32_f16 v10, v59, v67, v10
	;;#ASMEND
	;;#ASMSTART
	v_dot2_f32_f16 v10, v60, v68, v10
	;;#ASMEND
	;;#ASMSTART
	v_dot2_f32_f16 v52, v61, v53, v52
	;;#ASMEND
	;;#ASMSTART
	v_dot2_f32_f16 v52, v62, v54, v52
	;;#ASMEND
	;;#ASMSTART
	v_dot2_f32_f16 v52, v63, v55, v52
	;;#ASMEND
	;;#ASMSTART
	v_dot2_f32_f16 v52, v64, v56, v52
	;;#ASMEND
	;;#ASMSTART
	v_dot2_f32_f16 v11, v61, v65, v11
	;;#ASMEND
	;;#ASMSTART
	v_dot2_f32_f16 v11, v62, v66, v11
	;;#ASMEND
	;;#ASMSTART
	v_dot2_f32_f16 v11, v63, v67, v11
	;;#ASMEND
	;;#ASMSTART
	v_dot2_f32_f16 v11, v64, v68, v11
	;;#ASMEND
	ds_read_b128 v[53:56], v15 offset:160
	ds_read_b128 v[57:60], v19 offset:32
	;; [unrolled: 54-line block ×7, first 2 shown]
	ds_read_b128 v[61:64], v19 offset:4720
	ds_read_b128 v[65:68], v15 offset:1392
	s_waitcnt lgkmcnt(2)
	;;#ASMSTART
	v_dot2_f32_f16 v51, v57, v53, v51
	;;#ASMEND
	;;#ASMSTART
	v_dot2_f32_f16 v51, v58, v54, v51
	;;#ASMEND
	;; [unrolled: 3-line block ×4, first 2 shown]
	s_waitcnt lgkmcnt(0)
	;;#ASMSTART
	v_dot2_f32_f16 v10, v57, v65, v10
	;;#ASMEND
	;;#ASMSTART
	v_dot2_f32_f16 v10, v58, v66, v10
	;;#ASMEND
	;; [unrolled: 3-line block ×12, first 2 shown]
	s_barrier
	global_load_dwordx4 v[53:56], v[1:2], off offset:256
	global_load_dwordx4 v[57:60], v[3:4], off offset:256
	s_waitcnt vmcnt(1)
	ds_write_b128 v17, v[53:56]
	s_waitcnt vmcnt(0)
	ds_write_b128 v18, v[57:60]
	s_waitcnt lgkmcnt(0)
	s_barrier
	ds_read_b128 v[53:56], v15 offset:256
	ds_read_b128 v[57:60], v19
	ds_read_b128 v[61:64], v19 offset:4608
	ds_read_b128 v[65:68], v15 offset:1408
	s_waitcnt lgkmcnt(2)
	;;#ASMSTART
	v_dot2_f32_f16 v51, v57, v53, v51
	;;#ASMEND
	;;#ASMSTART
	v_dot2_f32_f16 v51, v58, v54, v51
	;;#ASMEND
	;;#ASMSTART
	v_dot2_f32_f16 v51, v59, v55, v51
	;;#ASMEND
	;;#ASMSTART
	v_dot2_f32_f16 v51, v60, v56, v51
	;;#ASMEND
	s_waitcnt lgkmcnt(0)
	;;#ASMSTART
	v_dot2_f32_f16 v10, v57, v65, v10
	;;#ASMEND
	;;#ASMSTART
	v_dot2_f32_f16 v10, v58, v66, v10
	;;#ASMEND
	;;#ASMSTART
	v_dot2_f32_f16 v10, v59, v67, v10
	;;#ASMEND
	;;#ASMSTART
	v_dot2_f32_f16 v10, v60, v68, v10
	;;#ASMEND
	;;#ASMSTART
	v_dot2_f32_f16 v52, v61, v53, v52
	;;#ASMEND
	;;#ASMSTART
	v_dot2_f32_f16 v52, v62, v54, v52
	;;#ASMEND
	;;#ASMSTART
	v_dot2_f32_f16 v52, v63, v55, v52
	;;#ASMEND
	;;#ASMSTART
	v_dot2_f32_f16 v52, v64, v56, v52
	;;#ASMEND
	;;#ASMSTART
	v_dot2_f32_f16 v11, v61, v65, v11
	;;#ASMEND
	;;#ASMSTART
	v_dot2_f32_f16 v11, v62, v66, v11
	;;#ASMEND
	;;#ASMSTART
	v_dot2_f32_f16 v11, v63, v67, v11
	;;#ASMEND
	;;#ASMSTART
	v_dot2_f32_f16 v11, v64, v68, v11
	;;#ASMEND
	ds_read_b128 v[53:56], v15 offset:272
	ds_read_b128 v[57:60], v19 offset:16
	ds_read_b128 v[61:64], v19 offset:4624
	ds_read_b128 v[65:68], v15 offset:1424
	s_waitcnt lgkmcnt(2)
	;;#ASMSTART
	v_dot2_f32_f16 v51, v57, v53, v51
	;;#ASMEND
	;;#ASMSTART
	v_dot2_f32_f16 v51, v58, v54, v51
	;;#ASMEND
	;;#ASMSTART
	v_dot2_f32_f16 v51, v59, v55, v51
	;;#ASMEND
	;;#ASMSTART
	v_dot2_f32_f16 v51, v60, v56, v51
	;;#ASMEND
	s_waitcnt lgkmcnt(0)
	;;#ASMSTART
	v_dot2_f32_f16 v10, v57, v65, v10
	;;#ASMEND
	;;#ASMSTART
	v_dot2_f32_f16 v10, v58, v66, v10
	;;#ASMEND
	;;#ASMSTART
	v_dot2_f32_f16 v10, v59, v67, v10
	;;#ASMEND
	;;#ASMSTART
	v_dot2_f32_f16 v10, v60, v68, v10
	;;#ASMEND
	;;#ASMSTART
	v_dot2_f32_f16 v52, v61, v53, v52
	;;#ASMEND
	;;#ASMSTART
	v_dot2_f32_f16 v52, v62, v54, v52
	;;#ASMEND
	;;#ASMSTART
	v_dot2_f32_f16 v52, v63, v55, v52
	;;#ASMEND
	;;#ASMSTART
	v_dot2_f32_f16 v52, v64, v56, v52
	;;#ASMEND
	;;#ASMSTART
	v_dot2_f32_f16 v11, v61, v65, v11
	;;#ASMEND
	;;#ASMSTART
	v_dot2_f32_f16 v11, v62, v66, v11
	;;#ASMEND
	;;#ASMSTART
	v_dot2_f32_f16 v11, v63, v67, v11
	;;#ASMEND
	;;#ASMSTART
	v_dot2_f32_f16 v11, v64, v68, v11
	;;#ASMEND
	ds_read_b128 v[53:56], v15 offset:288
	ds_read_b128 v[57:60], v19 offset:32
	;; [unrolled: 54-line block ×7, first 2 shown]
	ds_read_b128 v[61:64], v19 offset:4720
	ds_read_b128 v[65:68], v15 offset:1520
	s_waitcnt lgkmcnt(2)
	;;#ASMSTART
	v_dot2_f32_f16 v51, v57, v53, v51
	;;#ASMEND
	;;#ASMSTART
	v_dot2_f32_f16 v51, v58, v54, v51
	;;#ASMEND
	;; [unrolled: 3-line block ×4, first 2 shown]
	s_waitcnt lgkmcnt(0)
	;;#ASMSTART
	v_dot2_f32_f16 v10, v57, v65, v10
	;;#ASMEND
	;;#ASMSTART
	v_dot2_f32_f16 v10, v58, v66, v10
	;;#ASMEND
	;; [unrolled: 3-line block ×12, first 2 shown]
	s_barrier
	global_load_dwordx4 v[53:56], v[1:2], off offset:384
	global_load_dwordx4 v[57:60], v[3:4], off offset:384
	s_waitcnt vmcnt(1)
	ds_write_b128 v17, v[53:56]
	s_waitcnt vmcnt(0)
	ds_write_b128 v18, v[57:60]
	s_waitcnt lgkmcnt(0)
	s_barrier
	ds_read_b128 v[53:56], v15 offset:384
	ds_read_b128 v[57:60], v19
	ds_read_b128 v[61:64], v19 offset:4608
	ds_read_b128 v[65:68], v15 offset:1536
	s_waitcnt lgkmcnt(2)
	;;#ASMSTART
	v_dot2_f32_f16 v51, v57, v53, v51
	;;#ASMEND
	;;#ASMSTART
	v_dot2_f32_f16 v51, v58, v54, v51
	;;#ASMEND
	;;#ASMSTART
	v_dot2_f32_f16 v51, v59, v55, v51
	;;#ASMEND
	;;#ASMSTART
	v_dot2_f32_f16 v51, v60, v56, v51
	;;#ASMEND
	s_waitcnt lgkmcnt(0)
	;;#ASMSTART
	v_dot2_f32_f16 v10, v57, v65, v10
	;;#ASMEND
	;;#ASMSTART
	v_dot2_f32_f16 v10, v58, v66, v10
	;;#ASMEND
	;;#ASMSTART
	v_dot2_f32_f16 v10, v59, v67, v10
	;;#ASMEND
	;;#ASMSTART
	v_dot2_f32_f16 v10, v60, v68, v10
	;;#ASMEND
	;;#ASMSTART
	v_dot2_f32_f16 v52, v61, v53, v52
	;;#ASMEND
	;;#ASMSTART
	v_dot2_f32_f16 v52, v62, v54, v52
	;;#ASMEND
	;;#ASMSTART
	v_dot2_f32_f16 v52, v63, v55, v52
	;;#ASMEND
	;;#ASMSTART
	v_dot2_f32_f16 v52, v64, v56, v52
	;;#ASMEND
	;;#ASMSTART
	v_dot2_f32_f16 v11, v61, v65, v11
	;;#ASMEND
	;;#ASMSTART
	v_dot2_f32_f16 v11, v62, v66, v11
	;;#ASMEND
	;;#ASMSTART
	v_dot2_f32_f16 v11, v63, v67, v11
	;;#ASMEND
	;;#ASMSTART
	v_dot2_f32_f16 v11, v64, v68, v11
	;;#ASMEND
	ds_read_b128 v[53:56], v15 offset:400
	ds_read_b128 v[57:60], v19 offset:16
	ds_read_b128 v[61:64], v19 offset:4624
	ds_read_b128 v[65:68], v15 offset:1552
	s_waitcnt lgkmcnt(2)
	;;#ASMSTART
	v_dot2_f32_f16 v51, v57, v53, v51
	;;#ASMEND
	;;#ASMSTART
	v_dot2_f32_f16 v51, v58, v54, v51
	;;#ASMEND
	;;#ASMSTART
	v_dot2_f32_f16 v51, v59, v55, v51
	;;#ASMEND
	;;#ASMSTART
	v_dot2_f32_f16 v51, v60, v56, v51
	;;#ASMEND
	s_waitcnt lgkmcnt(0)
	;;#ASMSTART
	v_dot2_f32_f16 v10, v57, v65, v10
	;;#ASMEND
	;;#ASMSTART
	v_dot2_f32_f16 v10, v58, v66, v10
	;;#ASMEND
	;;#ASMSTART
	v_dot2_f32_f16 v10, v59, v67, v10
	;;#ASMEND
	;;#ASMSTART
	v_dot2_f32_f16 v10, v60, v68, v10
	;;#ASMEND
	;;#ASMSTART
	v_dot2_f32_f16 v52, v61, v53, v52
	;;#ASMEND
	;;#ASMSTART
	v_dot2_f32_f16 v52, v62, v54, v52
	;;#ASMEND
	;;#ASMSTART
	v_dot2_f32_f16 v52, v63, v55, v52
	;;#ASMEND
	;;#ASMSTART
	v_dot2_f32_f16 v52, v64, v56, v52
	;;#ASMEND
	;;#ASMSTART
	v_dot2_f32_f16 v11, v61, v65, v11
	;;#ASMEND
	;;#ASMSTART
	v_dot2_f32_f16 v11, v62, v66, v11
	;;#ASMEND
	;;#ASMSTART
	v_dot2_f32_f16 v11, v63, v67, v11
	;;#ASMEND
	;;#ASMSTART
	v_dot2_f32_f16 v11, v64, v68, v11
	;;#ASMEND
	ds_read_b128 v[53:56], v15 offset:416
	ds_read_b128 v[57:60], v19 offset:32
	;; [unrolled: 54-line block ×7, first 2 shown]
	ds_read_b128 v[61:64], v19 offset:4720
	ds_read_b128 v[65:68], v15 offset:1648
	s_waitcnt lgkmcnt(2)
	;;#ASMSTART
	v_dot2_f32_f16 v51, v57, v53, v51
	;;#ASMEND
	;;#ASMSTART
	v_dot2_f32_f16 v51, v58, v54, v51
	;;#ASMEND
	;; [unrolled: 3-line block ×4, first 2 shown]
	s_waitcnt lgkmcnt(0)
	;;#ASMSTART
	v_dot2_f32_f16 v10, v57, v65, v10
	;;#ASMEND
	;;#ASMSTART
	v_dot2_f32_f16 v10, v58, v66, v10
	;;#ASMEND
	;; [unrolled: 3-line block ×12, first 2 shown]
	s_barrier
	global_load_dwordx4 v[53:56], v[1:2], off offset:512
	global_load_dwordx4 v[57:60], v[3:4], off offset:512
	s_waitcnt vmcnt(1)
	ds_write_b128 v17, v[53:56]
	s_waitcnt vmcnt(0)
	ds_write_b128 v18, v[57:60]
	s_waitcnt lgkmcnt(0)
	s_barrier
	ds_read_b128 v[53:56], v15 offset:512
	ds_read_b128 v[57:60], v19
	ds_read_b128 v[61:64], v19 offset:4608
	ds_read_b128 v[65:68], v15 offset:1664
	s_waitcnt lgkmcnt(2)
	;;#ASMSTART
	v_dot2_f32_f16 v51, v57, v53, v51
	;;#ASMEND
	;;#ASMSTART
	v_dot2_f32_f16 v51, v58, v54, v51
	;;#ASMEND
	;;#ASMSTART
	v_dot2_f32_f16 v51, v59, v55, v51
	;;#ASMEND
	;;#ASMSTART
	v_dot2_f32_f16 v51, v60, v56, v51
	;;#ASMEND
	s_waitcnt lgkmcnt(0)
	;;#ASMSTART
	v_dot2_f32_f16 v10, v57, v65, v10
	;;#ASMEND
	;;#ASMSTART
	v_dot2_f32_f16 v10, v58, v66, v10
	;;#ASMEND
	;;#ASMSTART
	v_dot2_f32_f16 v10, v59, v67, v10
	;;#ASMEND
	;;#ASMSTART
	v_dot2_f32_f16 v10, v60, v68, v10
	;;#ASMEND
	;;#ASMSTART
	v_dot2_f32_f16 v52, v61, v53, v52
	;;#ASMEND
	;;#ASMSTART
	v_dot2_f32_f16 v52, v62, v54, v52
	;;#ASMEND
	;;#ASMSTART
	v_dot2_f32_f16 v52, v63, v55, v52
	;;#ASMEND
	;;#ASMSTART
	v_dot2_f32_f16 v52, v64, v56, v52
	;;#ASMEND
	;;#ASMSTART
	v_dot2_f32_f16 v11, v61, v65, v11
	;;#ASMEND
	;;#ASMSTART
	v_dot2_f32_f16 v11, v62, v66, v11
	;;#ASMEND
	;;#ASMSTART
	v_dot2_f32_f16 v11, v63, v67, v11
	;;#ASMEND
	;;#ASMSTART
	v_dot2_f32_f16 v11, v64, v68, v11
	;;#ASMEND
	ds_read_b128 v[53:56], v15 offset:528
	ds_read_b128 v[57:60], v19 offset:16
	ds_read_b128 v[61:64], v19 offset:4624
	ds_read_b128 v[65:68], v15 offset:1680
	s_waitcnt lgkmcnt(2)
	;;#ASMSTART
	v_dot2_f32_f16 v51, v57, v53, v51
	;;#ASMEND
	;;#ASMSTART
	v_dot2_f32_f16 v51, v58, v54, v51
	;;#ASMEND
	;;#ASMSTART
	v_dot2_f32_f16 v51, v59, v55, v51
	;;#ASMEND
	;;#ASMSTART
	v_dot2_f32_f16 v51, v60, v56, v51
	;;#ASMEND
	s_waitcnt lgkmcnt(0)
	;;#ASMSTART
	v_dot2_f32_f16 v10, v57, v65, v10
	;;#ASMEND
	;;#ASMSTART
	v_dot2_f32_f16 v10, v58, v66, v10
	;;#ASMEND
	;;#ASMSTART
	v_dot2_f32_f16 v10, v59, v67, v10
	;;#ASMEND
	;;#ASMSTART
	v_dot2_f32_f16 v10, v60, v68, v10
	;;#ASMEND
	;;#ASMSTART
	v_dot2_f32_f16 v52, v61, v53, v52
	;;#ASMEND
	;;#ASMSTART
	v_dot2_f32_f16 v52, v62, v54, v52
	;;#ASMEND
	;;#ASMSTART
	v_dot2_f32_f16 v52, v63, v55, v52
	;;#ASMEND
	;;#ASMSTART
	v_dot2_f32_f16 v52, v64, v56, v52
	;;#ASMEND
	;;#ASMSTART
	v_dot2_f32_f16 v11, v61, v65, v11
	;;#ASMEND
	;;#ASMSTART
	v_dot2_f32_f16 v11, v62, v66, v11
	;;#ASMEND
	;;#ASMSTART
	v_dot2_f32_f16 v11, v63, v67, v11
	;;#ASMEND
	;;#ASMSTART
	v_dot2_f32_f16 v11, v64, v68, v11
	;;#ASMEND
	ds_read_b128 v[53:56], v15 offset:544
	ds_read_b128 v[57:60], v19 offset:32
	;; [unrolled: 54-line block ×7, first 2 shown]
	ds_read_b128 v[61:64], v19 offset:4720
	ds_read_b128 v[65:68], v15 offset:1776
	s_waitcnt lgkmcnt(2)
	;;#ASMSTART
	v_dot2_f32_f16 v51, v57, v53, v51
	;;#ASMEND
	;;#ASMSTART
	v_dot2_f32_f16 v51, v58, v54, v51
	;;#ASMEND
	;; [unrolled: 3-line block ×4, first 2 shown]
	s_waitcnt lgkmcnt(0)
	;;#ASMSTART
	v_dot2_f32_f16 v10, v57, v65, v10
	;;#ASMEND
	;;#ASMSTART
	v_dot2_f32_f16 v10, v58, v66, v10
	;;#ASMEND
	;; [unrolled: 3-line block ×12, first 2 shown]
	s_barrier
	global_load_dwordx4 v[53:56], v[1:2], off offset:640
	global_load_dwordx4 v[57:60], v[3:4], off offset:640
	s_waitcnt vmcnt(1)
	ds_write_b128 v17, v[53:56]
	s_waitcnt vmcnt(0)
	ds_write_b128 v18, v[57:60]
	s_waitcnt lgkmcnt(0)
	s_barrier
	ds_read_b128 v[53:56], v15 offset:640
	ds_read_b128 v[57:60], v19
	ds_read_b128 v[61:64], v19 offset:4608
	ds_read_b128 v[65:68], v15 offset:1792
	s_waitcnt lgkmcnt(2)
	;;#ASMSTART
	v_dot2_f32_f16 v51, v57, v53, v51
	;;#ASMEND
	;;#ASMSTART
	v_dot2_f32_f16 v51, v58, v54, v51
	;;#ASMEND
	;;#ASMSTART
	v_dot2_f32_f16 v51, v59, v55, v51
	;;#ASMEND
	;;#ASMSTART
	v_dot2_f32_f16 v51, v60, v56, v51
	;;#ASMEND
	s_waitcnt lgkmcnt(0)
	;;#ASMSTART
	v_dot2_f32_f16 v10, v57, v65, v10
	;;#ASMEND
	;;#ASMSTART
	v_dot2_f32_f16 v10, v58, v66, v10
	;;#ASMEND
	;;#ASMSTART
	v_dot2_f32_f16 v10, v59, v67, v10
	;;#ASMEND
	;;#ASMSTART
	v_dot2_f32_f16 v10, v60, v68, v10
	;;#ASMEND
	;;#ASMSTART
	v_dot2_f32_f16 v52, v61, v53, v52
	;;#ASMEND
	;;#ASMSTART
	v_dot2_f32_f16 v52, v62, v54, v52
	;;#ASMEND
	;;#ASMSTART
	v_dot2_f32_f16 v52, v63, v55, v52
	;;#ASMEND
	;;#ASMSTART
	v_dot2_f32_f16 v52, v64, v56, v52
	;;#ASMEND
	;;#ASMSTART
	v_dot2_f32_f16 v11, v61, v65, v11
	;;#ASMEND
	;;#ASMSTART
	v_dot2_f32_f16 v11, v62, v66, v11
	;;#ASMEND
	;;#ASMSTART
	v_dot2_f32_f16 v11, v63, v67, v11
	;;#ASMEND
	;;#ASMSTART
	v_dot2_f32_f16 v11, v64, v68, v11
	;;#ASMEND
	ds_read_b128 v[53:56], v15 offset:656
	ds_read_b128 v[57:60], v19 offset:16
	ds_read_b128 v[61:64], v19 offset:4624
	ds_read_b128 v[65:68], v15 offset:1808
	s_waitcnt lgkmcnt(2)
	;;#ASMSTART
	v_dot2_f32_f16 v51, v57, v53, v51
	;;#ASMEND
	;;#ASMSTART
	v_dot2_f32_f16 v51, v58, v54, v51
	;;#ASMEND
	;;#ASMSTART
	v_dot2_f32_f16 v51, v59, v55, v51
	;;#ASMEND
	;;#ASMSTART
	v_dot2_f32_f16 v51, v60, v56, v51
	;;#ASMEND
	s_waitcnt lgkmcnt(0)
	;;#ASMSTART
	v_dot2_f32_f16 v10, v57, v65, v10
	;;#ASMEND
	;;#ASMSTART
	v_dot2_f32_f16 v10, v58, v66, v10
	;;#ASMEND
	;;#ASMSTART
	v_dot2_f32_f16 v10, v59, v67, v10
	;;#ASMEND
	;;#ASMSTART
	v_dot2_f32_f16 v10, v60, v68, v10
	;;#ASMEND
	;;#ASMSTART
	v_dot2_f32_f16 v52, v61, v53, v52
	;;#ASMEND
	;;#ASMSTART
	v_dot2_f32_f16 v52, v62, v54, v52
	;;#ASMEND
	;;#ASMSTART
	v_dot2_f32_f16 v52, v63, v55, v52
	;;#ASMEND
	;;#ASMSTART
	v_dot2_f32_f16 v52, v64, v56, v52
	;;#ASMEND
	;;#ASMSTART
	v_dot2_f32_f16 v11, v61, v65, v11
	;;#ASMEND
	;;#ASMSTART
	v_dot2_f32_f16 v11, v62, v66, v11
	;;#ASMEND
	;;#ASMSTART
	v_dot2_f32_f16 v11, v63, v67, v11
	;;#ASMEND
	;;#ASMSTART
	v_dot2_f32_f16 v11, v64, v68, v11
	;;#ASMEND
	ds_read_b128 v[53:56], v15 offset:672
	ds_read_b128 v[57:60], v19 offset:32
	;; [unrolled: 54-line block ×7, first 2 shown]
	ds_read_b128 v[61:64], v19 offset:4720
	ds_read_b128 v[65:68], v15 offset:1904
	s_waitcnt lgkmcnt(2)
	;;#ASMSTART
	v_dot2_f32_f16 v51, v57, v53, v51
	;;#ASMEND
	;;#ASMSTART
	v_dot2_f32_f16 v51, v58, v54, v51
	;;#ASMEND
	;; [unrolled: 3-line block ×4, first 2 shown]
	s_waitcnt lgkmcnt(0)
	;;#ASMSTART
	v_dot2_f32_f16 v10, v57, v65, v10
	;;#ASMEND
	;;#ASMSTART
	v_dot2_f32_f16 v10, v58, v66, v10
	;;#ASMEND
	;; [unrolled: 3-line block ×12, first 2 shown]
	s_barrier
	global_load_dwordx4 v[53:56], v[1:2], off offset:768
	global_load_dwordx4 v[57:60], v[3:4], off offset:768
	s_waitcnt vmcnt(1)
	ds_write_b128 v17, v[53:56]
	s_waitcnt vmcnt(0)
	ds_write_b128 v18, v[57:60]
	s_waitcnt lgkmcnt(0)
	s_barrier
	ds_read_b128 v[53:56], v15 offset:768
	ds_read_b128 v[57:60], v19
	ds_read_b128 v[61:64], v19 offset:4608
	ds_read_b128 v[65:68], v15 offset:1920
	s_waitcnt lgkmcnt(2)
	;;#ASMSTART
	v_dot2_f32_f16 v51, v57, v53, v51
	;;#ASMEND
	;;#ASMSTART
	v_dot2_f32_f16 v51, v58, v54, v51
	;;#ASMEND
	;;#ASMSTART
	v_dot2_f32_f16 v51, v59, v55, v51
	;;#ASMEND
	;;#ASMSTART
	v_dot2_f32_f16 v51, v60, v56, v51
	;;#ASMEND
	s_waitcnt lgkmcnt(0)
	;;#ASMSTART
	v_dot2_f32_f16 v10, v57, v65, v10
	;;#ASMEND
	;;#ASMSTART
	v_dot2_f32_f16 v10, v58, v66, v10
	;;#ASMEND
	;;#ASMSTART
	v_dot2_f32_f16 v10, v59, v67, v10
	;;#ASMEND
	;;#ASMSTART
	v_dot2_f32_f16 v10, v60, v68, v10
	;;#ASMEND
	;;#ASMSTART
	v_dot2_f32_f16 v52, v61, v53, v52
	;;#ASMEND
	;;#ASMSTART
	v_dot2_f32_f16 v52, v62, v54, v52
	;;#ASMEND
	;;#ASMSTART
	v_dot2_f32_f16 v52, v63, v55, v52
	;;#ASMEND
	;;#ASMSTART
	v_dot2_f32_f16 v52, v64, v56, v52
	;;#ASMEND
	;;#ASMSTART
	v_dot2_f32_f16 v11, v61, v65, v11
	;;#ASMEND
	;;#ASMSTART
	v_dot2_f32_f16 v11, v62, v66, v11
	;;#ASMEND
	;;#ASMSTART
	v_dot2_f32_f16 v11, v63, v67, v11
	;;#ASMEND
	;;#ASMSTART
	v_dot2_f32_f16 v11, v64, v68, v11
	;;#ASMEND
	ds_read_b128 v[53:56], v15 offset:784
	ds_read_b128 v[57:60], v19 offset:16
	ds_read_b128 v[61:64], v19 offset:4624
	ds_read_b128 v[65:68], v15 offset:1936
	s_waitcnt lgkmcnt(2)
	;;#ASMSTART
	v_dot2_f32_f16 v51, v57, v53, v51
	;;#ASMEND
	;;#ASMSTART
	v_dot2_f32_f16 v51, v58, v54, v51
	;;#ASMEND
	;;#ASMSTART
	v_dot2_f32_f16 v51, v59, v55, v51
	;;#ASMEND
	;;#ASMSTART
	v_dot2_f32_f16 v51, v60, v56, v51
	;;#ASMEND
	s_waitcnt lgkmcnt(0)
	;;#ASMSTART
	v_dot2_f32_f16 v10, v57, v65, v10
	;;#ASMEND
	;;#ASMSTART
	v_dot2_f32_f16 v10, v58, v66, v10
	;;#ASMEND
	;;#ASMSTART
	v_dot2_f32_f16 v10, v59, v67, v10
	;;#ASMEND
	;;#ASMSTART
	v_dot2_f32_f16 v10, v60, v68, v10
	;;#ASMEND
	;;#ASMSTART
	v_dot2_f32_f16 v52, v61, v53, v52
	;;#ASMEND
	;;#ASMSTART
	v_dot2_f32_f16 v52, v62, v54, v52
	;;#ASMEND
	;;#ASMSTART
	v_dot2_f32_f16 v52, v63, v55, v52
	;;#ASMEND
	;;#ASMSTART
	v_dot2_f32_f16 v52, v64, v56, v52
	;;#ASMEND
	;;#ASMSTART
	v_dot2_f32_f16 v11, v61, v65, v11
	;;#ASMEND
	;;#ASMSTART
	v_dot2_f32_f16 v11, v62, v66, v11
	;;#ASMEND
	;;#ASMSTART
	v_dot2_f32_f16 v11, v63, v67, v11
	;;#ASMEND
	;;#ASMSTART
	v_dot2_f32_f16 v11, v64, v68, v11
	;;#ASMEND
	ds_read_b128 v[53:56], v15 offset:800
	ds_read_b128 v[57:60], v19 offset:32
	;; [unrolled: 54-line block ×7, first 2 shown]
	ds_read_b128 v[61:64], v19 offset:4720
	ds_read_b128 v[65:68], v15 offset:2032
	s_waitcnt lgkmcnt(2)
	;;#ASMSTART
	v_dot2_f32_f16 v51, v57, v53, v51
	;;#ASMEND
	;;#ASMSTART
	v_dot2_f32_f16 v51, v58, v54, v51
	;;#ASMEND
	;; [unrolled: 3-line block ×4, first 2 shown]
	s_waitcnt lgkmcnt(0)
	;;#ASMSTART
	v_dot2_f32_f16 v10, v57, v65, v10
	;;#ASMEND
	;;#ASMSTART
	v_dot2_f32_f16 v10, v58, v66, v10
	;;#ASMEND
	;; [unrolled: 3-line block ×12, first 2 shown]
	s_barrier
	global_load_dwordx4 v[53:56], v[1:2], off offset:896
	global_load_dwordx4 v[57:60], v[3:4], off offset:896
	s_waitcnt vmcnt(1)
	ds_write_b128 v17, v[53:56]
	s_waitcnt vmcnt(0)
	ds_write_b128 v18, v[57:60]
	s_waitcnt lgkmcnt(0)
	s_barrier
	ds_read_b128 v[53:56], v15 offset:896
	ds_read_b128 v[57:60], v19
	ds_read_b128 v[61:64], v19 offset:4608
	ds_read_b128 v[65:68], v15 offset:2048
	s_waitcnt lgkmcnt(2)
	;;#ASMSTART
	v_dot2_f32_f16 v51, v57, v53, v51
	;;#ASMEND
	;;#ASMSTART
	v_dot2_f32_f16 v51, v58, v54, v51
	;;#ASMEND
	;;#ASMSTART
	v_dot2_f32_f16 v51, v59, v55, v51
	;;#ASMEND
	;;#ASMSTART
	v_dot2_f32_f16 v51, v60, v56, v51
	;;#ASMEND
	s_waitcnt lgkmcnt(0)
	;;#ASMSTART
	v_dot2_f32_f16 v10, v57, v65, v10
	;;#ASMEND
	;;#ASMSTART
	v_dot2_f32_f16 v10, v58, v66, v10
	;;#ASMEND
	;;#ASMSTART
	v_dot2_f32_f16 v10, v59, v67, v10
	;;#ASMEND
	;;#ASMSTART
	v_dot2_f32_f16 v10, v60, v68, v10
	;;#ASMEND
	;;#ASMSTART
	v_dot2_f32_f16 v52, v61, v53, v52
	;;#ASMEND
	;;#ASMSTART
	v_dot2_f32_f16 v52, v62, v54, v52
	;;#ASMEND
	;;#ASMSTART
	v_dot2_f32_f16 v52, v63, v55, v52
	;;#ASMEND
	;;#ASMSTART
	v_dot2_f32_f16 v52, v64, v56, v52
	;;#ASMEND
	;;#ASMSTART
	v_dot2_f32_f16 v11, v61, v65, v11
	;;#ASMEND
	;;#ASMSTART
	v_dot2_f32_f16 v11, v62, v66, v11
	;;#ASMEND
	;;#ASMSTART
	v_dot2_f32_f16 v11, v63, v67, v11
	;;#ASMEND
	;;#ASMSTART
	v_dot2_f32_f16 v11, v64, v68, v11
	;;#ASMEND
	ds_read_b128 v[53:56], v15 offset:912
	ds_read_b128 v[57:60], v19 offset:16
	ds_read_b128 v[61:64], v19 offset:4624
	ds_read_b128 v[65:68], v15 offset:2064
	s_waitcnt lgkmcnt(2)
	;;#ASMSTART
	v_dot2_f32_f16 v51, v57, v53, v51
	;;#ASMEND
	;;#ASMSTART
	v_dot2_f32_f16 v51, v58, v54, v51
	;;#ASMEND
	;;#ASMSTART
	v_dot2_f32_f16 v51, v59, v55, v51
	;;#ASMEND
	;;#ASMSTART
	v_dot2_f32_f16 v51, v60, v56, v51
	;;#ASMEND
	s_waitcnt lgkmcnt(0)
	;;#ASMSTART
	v_dot2_f32_f16 v10, v57, v65, v10
	;;#ASMEND
	;;#ASMSTART
	v_dot2_f32_f16 v10, v58, v66, v10
	;;#ASMEND
	;;#ASMSTART
	v_dot2_f32_f16 v10, v59, v67, v10
	;;#ASMEND
	;;#ASMSTART
	v_dot2_f32_f16 v10, v60, v68, v10
	;;#ASMEND
	;;#ASMSTART
	v_dot2_f32_f16 v52, v61, v53, v52
	;;#ASMEND
	;;#ASMSTART
	v_dot2_f32_f16 v52, v62, v54, v52
	;;#ASMEND
	;;#ASMSTART
	v_dot2_f32_f16 v52, v63, v55, v52
	;;#ASMEND
	;;#ASMSTART
	v_dot2_f32_f16 v52, v64, v56, v52
	;;#ASMEND
	;;#ASMSTART
	v_dot2_f32_f16 v11, v61, v65, v11
	;;#ASMEND
	;;#ASMSTART
	v_dot2_f32_f16 v11, v62, v66, v11
	;;#ASMEND
	;;#ASMSTART
	v_dot2_f32_f16 v11, v63, v67, v11
	;;#ASMEND
	;;#ASMSTART
	v_dot2_f32_f16 v11, v64, v68, v11
	;;#ASMEND
	ds_read_b128 v[53:56], v15 offset:928
	ds_read_b128 v[57:60], v19 offset:32
	;; [unrolled: 54-line block ×7, first 2 shown]
	ds_read_b128 v[61:64], v19 offset:4720
	ds_read_b128 v[65:68], v15 offset:2160
	s_waitcnt lgkmcnt(2)
	;;#ASMSTART
	v_dot2_f32_f16 v51, v57, v53, v51
	;;#ASMEND
	;;#ASMSTART
	v_dot2_f32_f16 v51, v58, v54, v51
	;;#ASMEND
	;; [unrolled: 3-line block ×4, first 2 shown]
	s_waitcnt lgkmcnt(0)
	;;#ASMSTART
	v_dot2_f32_f16 v10, v57, v65, v10
	;;#ASMEND
	;;#ASMSTART
	v_dot2_f32_f16 v10, v58, v66, v10
	;;#ASMEND
	;; [unrolled: 3-line block ×12, first 2 shown]
	s_barrier
	global_load_dwordx4 v[53:56], v[1:2], off offset:1024
	s_nop 0
	global_load_dwordx4 v[1:4], v[3:4], off offset:1024
	s_waitcnt vmcnt(1)
	ds_write_b128 v17, v[53:56]
	s_waitcnt vmcnt(0)
	ds_write_b128 v18, v[1:4]
	s_waitcnt lgkmcnt(0)
	s_barrier
	ds_read_b128 v[1:4], v15 offset:1024
	ds_read_b128 v[53:56], v19
	ds_read_b128 v[57:60], v19 offset:4608
	ds_read_b128 v[61:64], v15 offset:2176
	s_waitcnt lgkmcnt(2)
	;;#ASMSTART
	v_dot2_f32_f16 v51, v53, v1, v51
	;;#ASMEND
	;;#ASMSTART
	v_dot2_f32_f16 v51, v54, v2, v51
	;;#ASMEND
	;;#ASMSTART
	v_dot2_f32_f16 v51, v55, v3, v51
	;;#ASMEND
	;;#ASMSTART
	v_dot2_f32_f16 v51, v56, v4, v51
	;;#ASMEND
	s_waitcnt lgkmcnt(0)
	;;#ASMSTART
	v_dot2_f32_f16 v10, v53, v61, v10
	;;#ASMEND
	;;#ASMSTART
	v_dot2_f32_f16 v10, v54, v62, v10
	;;#ASMEND
	;;#ASMSTART
	v_dot2_f32_f16 v10, v55, v63, v10
	;;#ASMEND
	;;#ASMSTART
	v_dot2_f32_f16 v10, v56, v64, v10
	;;#ASMEND
	;;#ASMSTART
	v_dot2_f32_f16 v52, v57, v1, v52
	;;#ASMEND
	;;#ASMSTART
	v_dot2_f32_f16 v52, v58, v2, v52
	;;#ASMEND
	;;#ASMSTART
	v_dot2_f32_f16 v52, v59, v3, v52
	;;#ASMEND
	;;#ASMSTART
	v_dot2_f32_f16 v52, v60, v4, v52
	;;#ASMEND
	;;#ASMSTART
	v_dot2_f32_f16 v11, v57, v61, v11
	;;#ASMEND
	;;#ASMSTART
	v_dot2_f32_f16 v11, v58, v62, v11
	;;#ASMEND
	;;#ASMSTART
	v_dot2_f32_f16 v11, v59, v63, v11
	;;#ASMEND
	;;#ASMSTART
	v_dot2_f32_f16 v11, v60, v64, v11
	;;#ASMEND
	ds_read_b128 v[1:4], v15 offset:1040
	ds_read_b128 v[53:56], v19 offset:16
	ds_read_b128 v[57:60], v19 offset:4624
	ds_read_b128 v[61:64], v15 offset:2192
	s_waitcnt lgkmcnt(2)
	;;#ASMSTART
	v_dot2_f32_f16 v51, v53, v1, v51
	;;#ASMEND
	;;#ASMSTART
	v_dot2_f32_f16 v51, v54, v2, v51
	;;#ASMEND
	;;#ASMSTART
	v_dot2_f32_f16 v51, v55, v3, v51
	;;#ASMEND
	;;#ASMSTART
	v_dot2_f32_f16 v51, v56, v4, v51
	;;#ASMEND
	s_waitcnt lgkmcnt(0)
	;;#ASMSTART
	v_dot2_f32_f16 v10, v53, v61, v10
	;;#ASMEND
	;;#ASMSTART
	v_dot2_f32_f16 v10, v54, v62, v10
	;;#ASMEND
	;;#ASMSTART
	v_dot2_f32_f16 v10, v55, v63, v10
	;;#ASMEND
	;;#ASMSTART
	v_dot2_f32_f16 v10, v56, v64, v10
	;;#ASMEND
	;;#ASMSTART
	v_dot2_f32_f16 v52, v57, v1, v52
	;;#ASMEND
	;;#ASMSTART
	v_dot2_f32_f16 v52, v58, v2, v52
	;;#ASMEND
	;;#ASMSTART
	v_dot2_f32_f16 v52, v59, v3, v52
	;;#ASMEND
	;;#ASMSTART
	v_dot2_f32_f16 v52, v60, v4, v52
	;;#ASMEND
	;;#ASMSTART
	v_dot2_f32_f16 v11, v57, v61, v11
	;;#ASMEND
	;;#ASMSTART
	v_dot2_f32_f16 v11, v58, v62, v11
	;;#ASMEND
	;;#ASMSTART
	v_dot2_f32_f16 v11, v59, v63, v11
	;;#ASMEND
	;;#ASMSTART
	v_dot2_f32_f16 v11, v60, v64, v11
	;;#ASMEND
	ds_read_b128 v[1:4], v15 offset:1056
	ds_read_b128 v[53:56], v19 offset:32
	ds_read_b128 v[57:60], v19 offset:4640
	ds_read_b128 v[61:64], v15 offset:2208
	s_waitcnt lgkmcnt(2)
	;;#ASMSTART
	v_dot2_f32_f16 v51, v53, v1, v51
	;;#ASMEND
	;;#ASMSTART
	v_dot2_f32_f16 v51, v54, v2, v51
	;;#ASMEND
	;;#ASMSTART
	v_dot2_f32_f16 v51, v55, v3, v51
	;;#ASMEND
	;;#ASMSTART
	v_dot2_f32_f16 v51, v56, v4, v51
	;;#ASMEND
	s_waitcnt lgkmcnt(0)
	;;#ASMSTART
	v_dot2_f32_f16 v10, v53, v61, v10
	;;#ASMEND
	;;#ASMSTART
	v_dot2_f32_f16 v10, v54, v62, v10
	;;#ASMEND
	;;#ASMSTART
	v_dot2_f32_f16 v10, v55, v63, v10
	;;#ASMEND
	;;#ASMSTART
	v_dot2_f32_f16 v10, v56, v64, v10
	;;#ASMEND
	;;#ASMSTART
	v_dot2_f32_f16 v52, v57, v1, v52
	;;#ASMEND
	;;#ASMSTART
	v_dot2_f32_f16 v52, v58, v2, v52
	;;#ASMEND
	;;#ASMSTART
	v_dot2_f32_f16 v52, v59, v3, v52
	;;#ASMEND
	;;#ASMSTART
	v_dot2_f32_f16 v52, v60, v4, v52
	;;#ASMEND
	;;#ASMSTART
	v_dot2_f32_f16 v11, v57, v61, v11
	;;#ASMEND
	;;#ASMSTART
	v_dot2_f32_f16 v11, v58, v62, v11
	;;#ASMEND
	;;#ASMSTART
	v_dot2_f32_f16 v11, v59, v63, v11
	;;#ASMEND
	;;#ASMSTART
	v_dot2_f32_f16 v11, v60, v64, v11
	;;#ASMEND
	ds_read_b128 v[1:4], v15 offset:1072
	ds_read_b128 v[53:56], v19 offset:48
	ds_read_b128 v[57:60], v19 offset:4656
	ds_read_b128 v[61:64], v15 offset:2224
	s_waitcnt lgkmcnt(2)
	;;#ASMSTART
	v_dot2_f32_f16 v51, v53, v1, v51
	;;#ASMEND
	;;#ASMSTART
	v_dot2_f32_f16 v51, v54, v2, v51
	;;#ASMEND
	;;#ASMSTART
	v_dot2_f32_f16 v51, v55, v3, v51
	;;#ASMEND
	;;#ASMSTART
	v_dot2_f32_f16 v51, v56, v4, v51
	;;#ASMEND
	s_waitcnt lgkmcnt(0)
	;;#ASMSTART
	v_dot2_f32_f16 v10, v53, v61, v10
	;;#ASMEND
	;;#ASMSTART
	v_dot2_f32_f16 v10, v54, v62, v10
	;;#ASMEND
	;;#ASMSTART
	v_dot2_f32_f16 v10, v55, v63, v10
	;;#ASMEND
	;;#ASMSTART
	v_dot2_f32_f16 v10, v56, v64, v10
	;;#ASMEND
	;;#ASMSTART
	v_dot2_f32_f16 v52, v57, v1, v52
	;;#ASMEND
	;;#ASMSTART
	v_dot2_f32_f16 v52, v58, v2, v52
	;;#ASMEND
	;;#ASMSTART
	v_dot2_f32_f16 v52, v59, v3, v52
	;;#ASMEND
	;;#ASMSTART
	v_dot2_f32_f16 v52, v60, v4, v52
	;;#ASMEND
	;;#ASMSTART
	v_dot2_f32_f16 v11, v57, v61, v11
	;;#ASMEND
	;;#ASMSTART
	v_dot2_f32_f16 v11, v58, v62, v11
	;;#ASMEND
	;;#ASMSTART
	v_dot2_f32_f16 v11, v59, v63, v11
	;;#ASMEND
	;;#ASMSTART
	v_dot2_f32_f16 v11, v60, v64, v11
	;;#ASMEND
	ds_read_b128 v[1:4], v15 offset:1088
	ds_read_b128 v[53:56], v19 offset:64
	ds_read_b128 v[57:60], v19 offset:4672
	ds_read_b128 v[61:64], v15 offset:2240
	s_waitcnt lgkmcnt(2)
	;;#ASMSTART
	v_dot2_f32_f16 v51, v53, v1, v51
	;;#ASMEND
	;;#ASMSTART
	v_dot2_f32_f16 v51, v54, v2, v51
	;;#ASMEND
	;;#ASMSTART
	v_dot2_f32_f16 v51, v55, v3, v51
	;;#ASMEND
	;;#ASMSTART
	v_dot2_f32_f16 v51, v56, v4, v51
	;;#ASMEND
	s_waitcnt lgkmcnt(0)
	;;#ASMSTART
	v_dot2_f32_f16 v10, v53, v61, v10
	;;#ASMEND
	;;#ASMSTART
	v_dot2_f32_f16 v10, v54, v62, v10
	;;#ASMEND
	;;#ASMSTART
	v_dot2_f32_f16 v10, v55, v63, v10
	;;#ASMEND
	;;#ASMSTART
	v_dot2_f32_f16 v10, v56, v64, v10
	;;#ASMEND
	;;#ASMSTART
	v_dot2_f32_f16 v52, v57, v1, v52
	;;#ASMEND
	;;#ASMSTART
	v_dot2_f32_f16 v52, v58, v2, v52
	;;#ASMEND
	;;#ASMSTART
	v_dot2_f32_f16 v52, v59, v3, v52
	;;#ASMEND
	;;#ASMSTART
	v_dot2_f32_f16 v52, v60, v4, v52
	;;#ASMEND
	;;#ASMSTART
	v_dot2_f32_f16 v11, v57, v61, v11
	;;#ASMEND
	;;#ASMSTART
	v_dot2_f32_f16 v11, v58, v62, v11
	;;#ASMEND
	;;#ASMSTART
	v_dot2_f32_f16 v11, v59, v63, v11
	;;#ASMEND
	;;#ASMSTART
	v_dot2_f32_f16 v11, v60, v64, v11
	;;#ASMEND
	ds_read_b128 v[1:4], v15 offset:1104
	ds_read_b128 v[53:56], v19 offset:80
	ds_read_b128 v[57:60], v19 offset:4688
	ds_read_b128 v[61:64], v15 offset:2256
	s_waitcnt lgkmcnt(2)
	;;#ASMSTART
	v_dot2_f32_f16 v51, v53, v1, v51
	;;#ASMEND
	;;#ASMSTART
	v_dot2_f32_f16 v51, v54, v2, v51
	;;#ASMEND
	;;#ASMSTART
	v_dot2_f32_f16 v51, v55, v3, v51
	;;#ASMEND
	;;#ASMSTART
	v_dot2_f32_f16 v51, v56, v4, v51
	;;#ASMEND
	s_waitcnt lgkmcnt(0)
	;;#ASMSTART
	v_dot2_f32_f16 v10, v53, v61, v10
	;;#ASMEND
	;;#ASMSTART
	v_dot2_f32_f16 v10, v54, v62, v10
	;;#ASMEND
	;;#ASMSTART
	v_dot2_f32_f16 v10, v55, v63, v10
	;;#ASMEND
	;;#ASMSTART
	v_dot2_f32_f16 v10, v56, v64, v10
	;;#ASMEND
	;;#ASMSTART
	v_dot2_f32_f16 v52, v57, v1, v52
	;;#ASMEND
	;;#ASMSTART
	v_dot2_f32_f16 v52, v58, v2, v52
	;;#ASMEND
	;;#ASMSTART
	v_dot2_f32_f16 v52, v59, v3, v52
	;;#ASMEND
	;;#ASMSTART
	v_dot2_f32_f16 v52, v60, v4, v52
	;;#ASMEND
	;;#ASMSTART
	v_dot2_f32_f16 v11, v57, v61, v11
	;;#ASMEND
	;;#ASMSTART
	v_dot2_f32_f16 v11, v58, v62, v11
	;;#ASMEND
	;;#ASMSTART
	v_dot2_f32_f16 v11, v59, v63, v11
	;;#ASMEND
	;;#ASMSTART
	v_dot2_f32_f16 v11, v60, v64, v11
	;;#ASMEND
	ds_read_b128 v[1:4], v15 offset:1120
	ds_read_b128 v[53:56], v19 offset:96
	ds_read_b128 v[57:60], v19 offset:4704
	ds_read_b128 v[61:64], v15 offset:2272
	s_waitcnt lgkmcnt(2)
	;;#ASMSTART
	v_dot2_f32_f16 v51, v53, v1, v51
	;;#ASMEND
	;;#ASMSTART
	v_dot2_f32_f16 v51, v54, v2, v51
	;;#ASMEND
	;;#ASMSTART
	v_dot2_f32_f16 v51, v55, v3, v51
	;;#ASMEND
	;;#ASMSTART
	v_dot2_f32_f16 v51, v56, v4, v51
	;;#ASMEND
	s_waitcnt lgkmcnt(0)
	;;#ASMSTART
	v_dot2_f32_f16 v10, v53, v61, v10
	;;#ASMEND
	;;#ASMSTART
	v_dot2_f32_f16 v10, v54, v62, v10
	;;#ASMEND
	;;#ASMSTART
	v_dot2_f32_f16 v10, v55, v63, v10
	;;#ASMEND
	;;#ASMSTART
	v_dot2_f32_f16 v10, v56, v64, v10
	;;#ASMEND
	;;#ASMSTART
	v_dot2_f32_f16 v52, v57, v1, v52
	;;#ASMEND
	;;#ASMSTART
	v_dot2_f32_f16 v52, v58, v2, v52
	;;#ASMEND
	;;#ASMSTART
	v_dot2_f32_f16 v52, v59, v3, v52
	;;#ASMEND
	;;#ASMSTART
	v_dot2_f32_f16 v52, v60, v4, v52
	;;#ASMEND
	;;#ASMSTART
	v_dot2_f32_f16 v11, v57, v61, v11
	;;#ASMEND
	;;#ASMSTART
	v_dot2_f32_f16 v11, v58, v62, v11
	;;#ASMEND
	;;#ASMSTART
	v_dot2_f32_f16 v11, v59, v63, v11
	;;#ASMEND
	;;#ASMSTART
	v_dot2_f32_f16 v11, v60, v64, v11
	;;#ASMEND
	ds_read_b128 v[1:4], v15 offset:1136
	ds_read_b128 v[53:56], v19 offset:112
	ds_read_b128 v[57:60], v19 offset:4720
	ds_read_b128 v[61:64], v15 offset:2288
	s_waitcnt lgkmcnt(2)
	;;#ASMSTART
	v_dot2_f32_f16 v51, v53, v1, v51
	;;#ASMEND
	;;#ASMSTART
	v_dot2_f32_f16 v51, v54, v2, v51
	;;#ASMEND
	;; [unrolled: 3-line block ×4, first 2 shown]
	s_waitcnt lgkmcnt(0)
	;;#ASMSTART
	v_dot2_f32_f16 v10, v53, v61, v10
	;;#ASMEND
	;;#ASMSTART
	v_dot2_f32_f16 v10, v54, v62, v10
	;;#ASMEND
	;; [unrolled: 3-line block ×11, first 2 shown]
	v_cmp_nlt_f32_e64 s[8:9], |v51|, s12
	;;#ASMSTART
	v_dot2_f32_f16 v11, v60, v64, v11
	;;#ASMEND
                                        ; implicit-def: $vgpr4
	s_and_saveexec_b64 s[34:35], s[8:9]
	s_xor_b64 s[8:9], exec, s[34:35]
	s_cbranch_execz .LBB24_18
; %bb.17:                               ;   in Loop: Header=BB24_16 Depth=1
	v_add_f32_e64 v1, |v51|, |v51|
	v_mul_f32_e32 v2, 0x3fb8aa3b, v1
	v_rndne_f32_e32 v3, v2
	v_sub_f32_e32 v4, v2, v3
	v_fma_f32 v2, v1, s13, -v2
	v_fmac_f32_e32 v2, 0x32a5705f, v1
	v_add_f32_e32 v2, v4, v2
	v_cvt_i32_f32_e32 v3, v3
	v_exp_f32_e32 v2, v2
	v_cmp_ngt_f32_e32 vcc, s19, v1
	v_ldexp_f32 v2, v2, v3
	v_cndmask_b32_e32 v2, 0, v2, vcc
	v_cmp_nlt_f32_e32 vcc, s24, v1
	v_cndmask_b32_e32 v1, v30, v2, vcc
	v_add_f32_e32 v1, 1.0, v1
	v_rcp_f32_e32 v1, v1
	v_fma_f32 v4, v1, -2.0, 1.0
.LBB24_18:                              ;   in Loop: Header=BB24_16 Depth=1
	s_andn2_saveexec_b64 s[8:9], s[8:9]
; %bb.19:                               ;   in Loop: Header=BB24_16 Depth=1
	v_mul_f32_e32 v1, v51, v51
	v_mov_b32_e32 v2, 0x3ca908c9
	v_fmac_f32_e32 v2, 0xbbbac73d, v1
	v_fma_f32 v2, v1, v2, v27
	v_fma_f32 v2, v1, v2, v28
	;; [unrolled: 1-line block ×3, first 2 shown]
	v_mul_f32_e64 v2, |v51|, v2
	v_fma_f32 v4, v1, v2, |v51|
; %bb.20:                               ;   in Loop: Header=BB24_16 Depth=1
	s_or_b64 exec, exec, s[8:9]
	v_add_u32_e32 v1, s6, v5
	v_ashrrev_i32_e32 v2, 31, v1
	v_lshlrev_b64 v[1:2], 1, v[1:2]
	v_mov_b32_e32 v3, s31
	v_add_co_u32_e32 v1, vcc, s30, v1
	v_addc_co_u32_e32 v2, vcc, v3, v2, vcc
	global_load_ushort v3, v[1:2], off
	v_cmp_nlt_f32_e64 s[8:9], |v52|, s12
                                        ; implicit-def: $vgpr53
	s_and_saveexec_b64 s[34:35], s[8:9]
	s_xor_b64 s[8:9], exec, s[34:35]
	s_cbranch_execz .LBB24_22
; %bb.21:                               ;   in Loop: Header=BB24_16 Depth=1
	v_add_f32_e64 v53, |v52|, |v52|
	v_mul_f32_e32 v54, 0x3fb8aa3b, v53
	v_rndne_f32_e32 v55, v54
	v_sub_f32_e32 v56, v54, v55
	v_fma_f32 v54, v53, s13, -v54
	v_fmac_f32_e32 v54, 0x32a5705f, v53
	v_add_f32_e32 v54, v56, v54
	v_cvt_i32_f32_e32 v55, v55
	v_exp_f32_e32 v54, v54
	v_cmp_ngt_f32_e32 vcc, s19, v53
	v_ldexp_f32 v54, v54, v55
	v_cndmask_b32_e32 v54, 0, v54, vcc
	v_cmp_nlt_f32_e32 vcc, s24, v53
	v_cndmask_b32_e32 v53, v30, v54, vcc
	v_add_f32_e32 v53, 1.0, v53
	v_rcp_f32_e32 v53, v53
	v_fma_f32 v53, v53, -2.0, 1.0
.LBB24_22:                              ;   in Loop: Header=BB24_16 Depth=1
	s_andn2_saveexec_b64 s[8:9], s[8:9]
; %bb.23:                               ;   in Loop: Header=BB24_16 Depth=1
	v_mul_f32_e32 v53, v52, v52
	v_mov_b32_e32 v54, 0x3ca908c9
	v_fmac_f32_e32 v54, 0xbbbac73d, v53
	v_fma_f32 v54, v53, v54, v27
	v_fma_f32 v54, v53, v54, v28
	;; [unrolled: 1-line block ×3, first 2 shown]
	v_mul_f32_e64 v54, |v52|, v54
	v_fma_f32 v53, v53, v54, |v52|
; %bb.24:                               ;   in Loop: Header=BB24_16 Depth=1
	s_or_b64 exec, exec, s[8:9]
	global_load_ushort v61, v[1:2], off offset:64
	v_bfi_b32 v1, s25, v4, v51
	s_waitcnt vmcnt(1)
	v_fma_mix_f32 v2, s14, v1, v3 op_sel_hi:[0,0,1]
	v_and_b32_e32 v1, 0x60, v16
	v_add_u32_e32 v51, 32, v1
	v_xor_b32_e32 v56, 16, v16
	v_cmp_lt_i32_e32 vcc, v56, v51
	v_cndmask_b32_e32 v1, v16, v56, vcc
	v_lshlrev_b32_e32 v59, 2, v1
	v_bfi_b32 v1, s25, v53, v52
	v_add_f32_e32 v4, 0x40051340, v2
	v_cmp_nlt_f32_e64 s[8:9], |v10|, s12
                                        ; implicit-def: $vgpr64
	s_waitcnt vmcnt(0)
	v_fma_mix_f32 v1, s14, v1, v61 op_sel_hi:[0,0,1]
	v_add_f32_e32 v52, 0x40051340, v1
	v_max3_f32 v4, v50, v4, v52
	ds_bpermute_b32 v53, v59, v4
	v_xor_b32_e32 v52, 8, v16
	v_cmp_lt_i32_e32 vcc, v52, v51
	v_cndmask_b32_e32 v54, v16, v52, vcc
	v_lshlrev_b32_e32 v60, 2, v54
	s_waitcnt lgkmcnt(0)
	v_max_f32_e32 v53, v53, v53
	v_max_f32_e32 v4, v4, v53
	ds_bpermute_b32 v54, v60, v4
	v_xor_b32_e32 v53, 4, v16
	v_cmp_lt_i32_e32 vcc, v53, v51
	v_cndmask_b32_e32 v55, v16, v53, vcc
	v_lshlrev_b32_e32 v58, 2, v55
	s_waitcnt lgkmcnt(0)
	v_max_f32_e32 v54, v54, v54
	v_max_f32_e32 v4, v4, v54
	;; [unrolled: 8-line block ×4, first 2 shown]
	ds_bpermute_b32 v63, v4, v62
	s_and_saveexec_b64 s[34:35], s[8:9]
	s_xor_b64 s[8:9], exec, s[34:35]
	s_cbranch_execz .LBB24_26
; %bb.25:                               ;   in Loop: Header=BB24_16 Depth=1
	v_add_f32_e64 v64, |v10|, |v10|
	v_mul_f32_e32 v65, 0x3fb8aa3b, v64
	v_rndne_f32_e32 v66, v65
	v_sub_f32_e32 v67, v65, v66
	v_fma_f32 v65, v64, s13, -v65
	v_fmac_f32_e32 v65, 0x32a5705f, v64
	v_add_f32_e32 v65, v67, v65
	v_cvt_i32_f32_e32 v66, v66
	v_exp_f32_e32 v65, v65
	v_cmp_ngt_f32_e32 vcc, s19, v64
	v_ldexp_f32 v65, v65, v66
	v_cndmask_b32_e32 v65, 0, v65, vcc
	v_cmp_nlt_f32_e32 vcc, s24, v64
	v_cndmask_b32_e32 v64, v30, v65, vcc
	v_add_f32_e32 v64, 1.0, v64
	v_rcp_f32_e32 v64, v64
	v_fma_f32 v64, v64, -2.0, 1.0
.LBB24_26:                              ;   in Loop: Header=BB24_16 Depth=1
	s_andn2_saveexec_b64 s[8:9], s[8:9]
; %bb.27:                               ;   in Loop: Header=BB24_16 Depth=1
	v_mul_f32_e32 v64, v10, v10
	v_mov_b32_e32 v65, 0x3ca908c9
	v_fmac_f32_e32 v65, 0xbbbac73d, v64
	v_fma_f32 v65, v64, v65, v27
	v_fma_f32 v65, v64, v65, v28
	;; [unrolled: 1-line block ×3, first 2 shown]
	v_mul_f32_e64 v65, |v10|, v65
	v_fma_f32 v64, v64, v65, |v10|
; %bb.28:                               ;   in Loop: Header=BB24_16 Depth=1
	s_or_b64 exec, exec, s[8:9]
	v_cmp_nlt_f32_e64 s[8:9], |v11|, s12
                                        ; implicit-def: $vgpr65
	s_and_saveexec_b64 s[34:35], s[8:9]
	s_xor_b64 s[8:9], exec, s[34:35]
	s_cbranch_execz .LBB24_30
; %bb.29:                               ;   in Loop: Header=BB24_16 Depth=1
	v_add_f32_e64 v65, |v11|, |v11|
	v_mul_f32_e32 v66, 0x3fb8aa3b, v65
	v_rndne_f32_e32 v67, v66
	v_sub_f32_e32 v68, v66, v67
	v_fma_f32 v66, v65, s13, -v66
	v_fmac_f32_e32 v66, 0x32a5705f, v65
	v_add_f32_e32 v66, v68, v66
	v_cvt_i32_f32_e32 v67, v67
	v_exp_f32_e32 v66, v66
	v_cmp_ngt_f32_e32 vcc, s19, v65
	v_ldexp_f32 v66, v66, v67
	v_cndmask_b32_e32 v66, 0, v66, vcc
	v_cmp_nlt_f32_e32 vcc, s24, v65
	v_cndmask_b32_e32 v65, v30, v66, vcc
	v_add_f32_e32 v65, 1.0, v65
	v_rcp_f32_e32 v65, v65
	v_fma_f32 v65, v65, -2.0, 1.0
.LBB24_30:                              ;   in Loop: Header=BB24_16 Depth=1
	s_andn2_saveexec_b64 s[8:9], s[8:9]
; %bb.31:                               ;   in Loop: Header=BB24_16 Depth=1
	v_mul_f32_e32 v65, v11, v11
	v_mov_b32_e32 v66, 0x3ca908c9
	v_fmac_f32_e32 v66, 0xbbbac73d, v65
	v_fma_f32 v66, v65, v66, v27
	v_fma_f32 v66, v65, v66, v28
	;; [unrolled: 1-line block ×3, first 2 shown]
	v_mul_f32_e64 v66, |v11|, v66
	v_fma_f32 v65, v65, v66, |v11|
; %bb.32:                               ;   in Loop: Header=BB24_16 Depth=1
	s_or_b64 exec, exec, s[8:9]
	v_cvt_f32_f16_e32 v66, v3
	v_cvt_f32_f16_e32 v67, v61
	v_bfi_b32 v3, s25, v64, v10
	v_bfi_b32 v10, s25, v65, v11
	v_fmac_f32_e32 v66, s14, v3
	v_fmac_f32_e32 v67, s14, v10
	v_add_f32_e32 v3, 0x40051340, v66
	v_add_f32_e32 v10, 0x40051340, v67
	v_max3_f32 v3, v48, v3, v10
	ds_bpermute_b32 v10, v59, v3
	s_waitcnt lgkmcnt(1)
	v_max_f32_e32 v11, v63, v63
	s_mul_hi_i32 s9, s6, s15
	s_mul_i32 s8, s6, s15
	s_lshl_b64 s[8:9], s[8:9], 2
	s_waitcnt lgkmcnt(0)
	v_max_f32_e32 v10, v10, v10
	v_max_f32_e32 v3, v3, v10
	ds_bpermute_b32 v59, v60, v3
	v_max_f32_e32 v10, v62, v62
	v_max_f32_e32 v10, v10, v11
	v_sub_f32_e32 v2, v2, v10
	v_sub_f32_e32 v63, v1, v10
	s_waitcnt lgkmcnt(0)
	v_max_f32_e32 v11, v59, v59
	v_max_f32_e32 v3, v3, v11
	ds_bpermute_b32 v11, v58, v3
	v_mul_f32_e32 v58, 0x3fb8aa3b, v2
	v_fma_f32 v59, v2, s13, -v58
	v_rndne_f32_e32 v60, v58
	v_fmac_f32_e32 v59, 0x32a5705f, v2
	s_waitcnt lgkmcnt(0)
	v_max_f32_e32 v11, v11, v11
	v_max_f32_e32 v3, v3, v11
	ds_bpermute_b32 v11, v57, v3
	v_sub_f32_e32 v57, v58, v60
	v_add_f32_e32 v57, v57, v59
	v_cvt_i32_f32_e32 v58, v60
	v_exp_f32_e32 v57, v57
	s_waitcnt lgkmcnt(0)
	v_max_f32_e32 v11, v11, v11
	v_max_f32_e32 v3, v3, v11
	ds_bpermute_b32 v4, v4, v3
	v_ldexp_f32 v57, v57, v58
	v_cmp_ngt_f32_e32 vcc, s19, v2
	v_mul_f32_e32 v1, 0x3fb8aa3b, v63
	v_sub_f32_e32 v50, v50, v10
	s_waitcnt lgkmcnt(0)
	v_max_f32_e32 v4, v4, v4
	v_max_f32_e32 v11, v3, v4
	v_cndmask_b32_e32 v3, 0, v57, vcc
	v_fma_f32 v4, v63, s13, -v1
	v_rndne_f32_e32 v57, v1
	v_fmac_f32_e32 v4, 0x32a5705f, v63
	v_sub_f32_e32 v1, v1, v57
	v_add_f32_e32 v1, v1, v4
	v_exp_f32_e32 v1, v1
	v_cvt_i32_f32_e32 v4, v57
	v_cmp_nlt_f32_e32 vcc, s24, v2
	v_cndmask_b32_e32 v64, v30, v3, vcc
	v_add_co_u32_e32 v57, vcc, s8, v24
	v_ldexp_f32 v68, v1, v4
	v_mul_f32_e32 v1, 0x3fb8aa3b, v50
	v_fma_f32 v2, v50, s13, -v1
	v_rndne_f32_e32 v3, v1
	v_fmac_f32_e32 v2, 0x32a5705f, v50
	v_sub_f32_e32 v1, v1, v3
	v_add_f32_e32 v1, v1, v2
	v_exp_f32_e32 v69, v1
	v_mov_b32_e32 v1, s9
	v_addc_co_u32_e32 v58, vcc, v25, v1, vcc
	s_barrier
	v_cvt_i32_f32_e32 v70, v3
	global_load_dwordx4 v[1:4], v[57:58], off
	global_load_dwordx4 v[59:62], v[57:58], off offset:512
	v_cmp_ngt_f32_e32 vcc, s19, v63
	v_cndmask_b32_e32 v57, 0, v68, vcc
	v_cmp_nlt_f32_e32 vcc, s24, v63
	v_cndmask_b32_e32 v58, v30, v57, vcc
	v_ldexp_f32 v57, v69, v70
	v_cmp_ngt_f32_e32 vcc, s19, v50
	v_cndmask_b32_e32 v57, 0, v57, vcc
	v_cmp_nlt_f32_e32 vcc, s24, v50
	v_cndmask_b32_e32 v50, v30, v57, vcc
	v_cvt_f16_f32_e32 v63, v50
	v_add_f32_e32 v57, v64, v58
	v_fmac_f32_e32 v57, v49, v50
	v_cvt_f16_f32_e32 v65, v64
	v_mul_u32_u24_e32 v49, 0x10001, v63
	v_pk_mul_f16 v69, v42, v49
	v_sub_f32_e32 v42, v66, v11
	v_pk_mul_f16 v70, v43, v49
	v_mul_f32_e32 v43, 0x3fb8aa3b, v42
	v_pk_mul_f16 v63, v44, v49
	v_pk_mul_f16 v68, v45, v49
	v_fma_f32 v44, v42, s13, -v43
	v_rndne_f32_e32 v45, v43
	v_fmac_f32_e32 v44, 0x32a5705f, v42
	v_sub_f32_e32 v43, v43, v45
	v_add_f32_e32 v43, v43, v44
	v_exp_f32_e32 v43, v43
	v_cvt_i32_f32_e32 v44, v45
	v_pk_mul_f16 v71, v41, v49
	v_pk_mul_f16 v50, v46, v49
	;; [unrolled: 1-line block ×3, first 2 shown]
	v_ldexp_f32 v41, v43, v44
	v_sub_f32_e32 v43, v67, v11
	v_mul_f32_e32 v44, 0x3fb8aa3b, v43
	v_fma_f32 v45, v43, s13, -v44
	v_rndne_f32_e32 v46, v44
	v_fmac_f32_e32 v45, 0x32a5705f, v43
	v_sub_f32_e32 v44, v44, v46
	v_add_f32_e32 v44, v44, v45
	v_exp_f32_e32 v44, v44
	v_cvt_i32_f32_e32 v45, v46
	v_sub_f32_e32 v40, v48, v11
	v_cmp_ngt_f32_e32 vcc, s19, v42
	v_cndmask_b32_e32 v41, 0, v41, vcc
	v_ldexp_f32 v44, v44, v45
	v_mul_f32_e32 v45, 0x3fb8aa3b, v40
	v_fma_f32 v46, v40, s13, -v45
	v_rndne_f32_e32 v48, v45
	v_fmac_f32_e32 v46, 0x32a5705f, v40
	v_sub_f32_e32 v45, v45, v48
	v_add_f32_e32 v45, v45, v46
	v_exp_f32_e32 v45, v45
	v_cvt_i32_f32_e32 v46, v48
	v_cmp_nlt_f32_e32 vcc, s24, v42
	v_cndmask_b32_e32 v41, v30, v41, vcc
	v_cmp_ngt_f32_e32 vcc, s19, v43
	v_cndmask_b32_e32 v44, 0, v44, vcc
	v_cmp_nlt_f32_e32 vcc, s24, v43
	v_cndmask_b32_e32 v43, v30, v44, vcc
	v_ldexp_f32 v44, v45, v46
	v_cmp_ngt_f32_e32 vcc, s19, v40
	v_cndmask_b32_e32 v44, 0, v44, vcc
	v_cmp_nlt_f32_e32 vcc, s24, v40
	v_cndmask_b32_e32 v40, v30, v44, vcc
	v_cvt_f16_f32_e32 v44, v40
	v_cvt_f16_f32_e32 v64, v58
	;; [unrolled: 1-line block ×3, first 2 shown]
	v_add_f32_e32 v58, v41, v43
	v_cvt_f16_f32_e32 v41, v43
	v_mul_u32_u24_e32 v48, 0x10001, v44
	v_pk_mul_f16 v67, v33, v48
	v_pk_mul_f16 v72, v34, v48
	v_pk_mul_f16 v73, v32, v48
	v_add_u32_e32 v32, v20, v13
	v_pack_b32_f16 v33, v65, v42
	v_pack_b32_f16 v34, v64, v41
	v_fmac_f32_e32 v58, v47, v40
	ds_write2_b32 v32, v33, v34 offset1:32
	s_waitcnt vmcnt(1)
	ds_write_b128 v21, v[1:4]
	s_waitcnt vmcnt(0)
	ds_write_b128 v22, v[59:62]
	s_waitcnt lgkmcnt(0)
	s_barrier
	ds_read_b128 v[40:43], v20
	v_pk_mul_f16 v59, v31, v48
	ds_read2_b64 v[31:34], v23 offset1:32
	ds_read2_b64 v[44:47], v23 offset0:64 offset1:96
	ds_read_b128 v[1:4], v20 offset:16
	v_pk_mul_f16 v38, v38, v48
	v_pk_mul_f16 v36, v36, v48
	s_waitcnt lgkmcnt(3)
	v_mul_u32_u24_sdwa v60, v40, s26 dst_sel:DWORD dst_unused:UNUSED_PAD src0_sel:WORD_0 src1_sel:DWORD
	v_mul_u32_u24_sdwa v40, v40, s26 dst_sel:DWORD dst_unused:UNUSED_PAD src0_sel:WORD_1 src1_sel:DWORD
	v_pk_mul_f16 v37, v37, v48
	s_waitcnt lgkmcnt(2)
	v_pk_mul_f16 v61, v31, v60
	v_pk_mul_f16 v31, v31, v40
	v_pk_fma_f16 v39, v39, v49, v61
	v_pk_fma_f16 v48, v35, v48, v31
	;; [unrolled: 1-line block ×8, first 2 shown]
	ds_read2_b64 v[31:34], v23 offset0:128 offset1:160
	ds_read2_b64 v[35:38], v23 offset0:192 offset1:224
	s_waitcnt lgkmcnt(3)
	v_pk_fma_f16 v65, v44, v60, v69
	v_pk_fma_f16 v44, v44, v40, v67
	;; [unrolled: 1-line block ×8, first 2 shown]
	v_mul_u32_u24_sdwa v47, v41, s26 dst_sel:DWORD dst_unused:UNUSED_PAD src0_sel:WORD_0 src1_sel:DWORD
	v_mul_u32_u24_sdwa v41, v41, s26 dst_sel:DWORD dst_unused:UNUSED_PAD src0_sel:WORD_1 src1_sel:DWORD
	s_waitcnt lgkmcnt(1)
	v_pk_fma_f16 v59, v31, v47, v39
	v_pk_fma_f16 v48, v31, v41, v48
	v_add_u32_e32 v31, 0x800, v23
	v_pk_fma_f16 v49, v32, v47, v49
	v_pk_fma_f16 v50, v32, v41, v50
	;; [unrolled: 1-line block ×6, first 2 shown]
	s_waitcnt lgkmcnt(0)
	v_pk_fma_f16 v65, v35, v47, v65
	v_pk_fma_f16 v44, v35, v41, v44
	ds_read2_b64 v[32:35], v31 offset1:32
	v_pk_fma_f16 v67, v36, v47, v67
	v_pk_fma_f16 v45, v36, v41, v45
	v_pk_fma_f16 v66, v37, v47, v66
	v_pk_fma_f16 v46, v37, v41, v46
	v_pk_fma_f16 v47, v38, v47, v60
	v_pk_fma_f16 v40, v38, v41, v40
	ds_read2_b64 v[36:39], v31 offset0:64 offset1:96
	v_mul_u32_u24_sdwa v41, v42, s26 dst_sel:DWORD dst_unused:UNUSED_PAD src0_sel:WORD_0 src1_sel:DWORD
	v_mul_u32_u24_sdwa v42, v42, s26 dst_sel:DWORD dst_unused:UNUSED_PAD src0_sel:WORD_1 src1_sel:DWORD
	s_waitcnt lgkmcnt(1)
	v_pk_fma_f16 v59, v32, v41, v59
	v_pk_fma_f16 v48, v32, v42, v48
	;; [unrolled: 1-line block ×8, first 2 shown]
	ds_read2_b64 v[32:35], v31 offset0:128 offset1:160
	s_waitcnt lgkmcnt(1)
	v_pk_fma_f16 v64, v36, v41, v65
	v_pk_fma_f16 v91, v36, v42, v44
	;; [unrolled: 1-line block ×8, first 2 shown]
	ds_read2_b64 v[36:39], v31 offset0:192 offset1:224
	s_or_b32 s8, s6, 8
	s_mul_hi_i32 s9, s8, s15
	s_mul_i32 s8, s8, s15
	v_mul_u32_u24_sdwa v98, v43, s26 dst_sel:DWORD dst_unused:UNUSED_PAD src0_sel:WORD_0 src1_sel:DWORD
	v_mul_u32_u24_sdwa v99, v43, s26 dst_sel:DWORD dst_unused:UNUSED_PAD src0_sel:WORD_1 src1_sel:DWORD
	s_lshl_b64 s[8:9], s[8:9], 2
	s_waitcnt lgkmcnt(1)
	v_pk_fma_f16 v101, v34, v98, v60
	v_pk_fma_f16 v102, v34, v99, v61
	;; [unrolled: 1-line block ×4, first 2 shown]
	v_mov_b32_e32 v35, s9
	v_add_co_u32_e32 v34, vcc, s8, v24
	v_pk_fma_f16 v100, v32, v98, v59
	v_pk_fma_f16 v48, v32, v99, v48
	;; [unrolled: 1-line block ×4, first 2 shown]
	v_add_u32_e32 v33, 0x1000, v23
	v_add_u32_e32 v32, 0x1800, v23
	v_addc_co_u32_e32 v35, vcc, v25, v35, vcc
	s_waitcnt lgkmcnt(0)
	v_pk_fma_f16 v105, v36, v98, v64
	ds_read2_b64 v[40:43], v33 offset1:32
	ds_read2_b64 v[44:47], v33 offset0:64 offset1:96
	ds_read2_b64 v[59:62], v33 offset0:128 offset1:160
	;; [unrolled: 1-line block ×3, first 2 shown]
	ds_read2_b64 v[67:70], v32 offset1:32
	ds_read2_b64 v[71:74], v32 offset0:64 offset1:96
	ds_read2_b64 v[75:78], v32 offset0:128 offset1:160
	ds_read2_b64 v[79:82], v32 offset0:192 offset1:224
	s_waitcnt lgkmcnt(0)
	s_barrier
	global_load_dwordx4 v[83:86], v[34:35], off
	global_load_dwordx4 v[87:90], v[34:35], off offset:512
	v_pk_fma_f16 v34, v36, v99, v91
	v_pk_fma_f16 v35, v37, v98, v92
	;; [unrolled: 1-line block ×7, first 2 shown]
	v_mul_u32_u24_sdwa v92, v1, s26 dst_sel:DWORD dst_unused:UNUSED_PAD src0_sel:WORD_0 src1_sel:DWORD
	v_mul_u32_u24_sdwa v1, v1, s26 dst_sel:DWORD dst_unused:UNUSED_PAD src0_sel:WORD_1 src1_sel:DWORD
	v_pk_fma_f16 v93, v40, v92, v100
	v_pk_fma_f16 v40, v40, v1, v48
	;; [unrolled: 1-line block ×14, first 2 shown]
	v_mul_u32_u24_sdwa v39, v2, s26 dst_sel:DWORD dst_unused:UNUSED_PAD src0_sel:WORD_0 src1_sel:DWORD
	v_mul_u32_u24_sdwa v2, v2, s26 dst_sel:DWORD dst_unused:UNUSED_PAD src0_sel:WORD_1 src1_sel:DWORD
	v_pk_fma_f16 v40, v59, v2, v40
	v_pk_fma_f16 v41, v60, v2, v41
	v_pk_fma_f16 v42, v61, v2, v42
	v_pk_fma_f16 v43, v62, v2, v43
	v_pk_fma_f16 v34, v63, v2, v34
	v_pk_fma_f16 v35, v64, v39, v35
	v_pk_fma_f16 v36, v64, v2, v36
	v_pk_fma_f16 v37, v65, v39, v37
	v_pk_fma_f16 v38, v65, v2, v38
	v_pk_fma_f16 v1, v66, v2, v1
	v_mul_u32_u24_sdwa v2, v3, s26 dst_sel:DWORD dst_unused:UNUSED_PAD src0_sel:WORD_0 src1_sel:DWORD
	v_mul_u32_u24_sdwa v3, v3, s26 dst_sel:DWORD dst_unused:UNUSED_PAD src0_sel:WORD_1 src1_sel:DWORD
	v_pk_fma_f16 v94, v44, v92, v105
	v_pk_fma_f16 v44, v47, v92, v91
	;; [unrolled: 1-line block ×12, first 2 shown]
	v_mul_u32_u24_sdwa v3, v4, s26 dst_sel:DWORD dst_unused:UNUSED_PAD src0_sel:WORD_0 src1_sel:DWORD
	v_mul_u32_u24_sdwa v4, v4, s26 dst_sel:DWORD dst_unused:UNUSED_PAD src0_sel:WORD_1 src1_sel:DWORD
	v_pk_fma_f16 v45, v59, v39, v93
	v_pk_fma_f16 v46, v60, v39, v48
	;; [unrolled: 1-line block ×10, first 2 shown]
	s_waitcnt vmcnt(1)
	ds_write_b128 v21, v[83:86]
	s_waitcnt vmcnt(0)
	ds_write_b128 v22, v[87:90]
	s_waitcnt lgkmcnt(0)
	s_barrier
	ds_read_b128 v[34:37], v20 offset:32
	v_pk_fma_f16 v44, v67, v2, v45
	v_pk_fma_f16 v45, v68, v2, v46
	;; [unrolled: 1-line block ×18, first 2 shown]
	ds_read2_b64 v[38:41], v23 offset1:32
	ds_read2_b64 v[42:45], v23 offset0:64 offset1:96
	ds_read_b128 v[1:4], v20 offset:48
	s_waitcnt lgkmcnt(3)
	v_mul_u32_u24_sdwa v70, v34, s26 dst_sel:DWORD dst_unused:UNUSED_PAD src0_sel:WORD_0 src1_sel:DWORD
	v_mul_u32_u24_sdwa v34, v34, s26 dst_sel:DWORD dst_unused:UNUSED_PAD src0_sel:WORD_1 src1_sel:DWORD
	s_waitcnt lgkmcnt(2)
	v_pk_fma_f16 v49, v38, v70, v49
	v_pk_fma_f16 v50, v38, v34, v50
	;; [unrolled: 1-line block ×8, first 2 shown]
	s_waitcnt lgkmcnt(1)
	v_pk_fma_f16 v48, v42, v70, v48
	v_pk_fma_f16 v63, v42, v34, v63
	;; [unrolled: 1-line block ×7, first 2 shown]
	ds_read2_b64 v[38:41], v23 offset0:128 offset1:160
	v_pk_fma_f16 v34, v45, v34, v69
	ds_read2_b64 v[42:45], v23 offset0:192 offset1:224
	v_mul_u32_u24_sdwa v69, v35, s26 dst_sel:DWORD dst_unused:UNUSED_PAD src0_sel:WORD_0 src1_sel:DWORD
	v_mul_u32_u24_sdwa v35, v35, s26 dst_sel:DWORD dst_unused:UNUSED_PAD src0_sel:WORD_1 src1_sel:DWORD
	s_waitcnt lgkmcnt(1)
	v_pk_fma_f16 v49, v38, v69, v49
	v_pk_fma_f16 v50, v38, v35, v50
	;; [unrolled: 1-line block ×8, first 2 shown]
	s_waitcnt lgkmcnt(0)
	v_pk_fma_f16 v48, v42, v69, v48
	v_pk_fma_f16 v63, v42, v35, v63
	;; [unrolled: 1-line block ×7, first 2 shown]
	ds_read2_b64 v[38:41], v31 offset1:32
	v_pk_fma_f16 v34, v45, v35, v34
	ds_read2_b64 v[42:45], v31 offset0:64 offset1:96
	v_mul_u32_u24_sdwa v35, v36, s26 dst_sel:DWORD dst_unused:UNUSED_PAD src0_sel:WORD_0 src1_sel:DWORD
	v_mul_u32_u24_sdwa v36, v36, s26 dst_sel:DWORD dst_unused:UNUSED_PAD src0_sel:WORD_1 src1_sel:DWORD
	s_waitcnt lgkmcnt(1)
	v_pk_fma_f16 v49, v38, v35, v49
	v_pk_fma_f16 v50, v38, v36, v50
	;; [unrolled: 1-line block ×8, first 2 shown]
	s_waitcnt lgkmcnt(0)
	v_pk_fma_f16 v48, v42, v35, v48
	v_pk_fma_f16 v87, v42, v36, v63
	;; [unrolled: 1-line block ×7, first 2 shown]
	ds_read2_b64 v[38:41], v31 offset0:128 offset1:160
	v_pk_fma_f16 v93, v45, v36, v34
	ds_read2_b64 v[42:45], v31 offset0:192 offset1:224
	s_or_b32 s8, s6, 16
	s_mul_hi_i32 s9, s8, s15
	s_mul_i32 s8, s8, s15
	s_lshl_b64 s[8:9], s[8:9], 2
	v_mov_b32_e32 v79, s9
	v_add_co_u32_e32 v83, vcc, s8, v24
	v_mul_u32_u24_sdwa v94, v37, s26 dst_sel:DWORD dst_unused:UNUSED_PAD src0_sel:WORD_0 src1_sel:DWORD
	v_mul_u32_u24_sdwa v95, v37, s26 dst_sel:DWORD dst_unused:UNUSED_PAD src0_sel:WORD_1 src1_sel:DWORD
	v_addc_co_u32_e32 v84, vcc, v25, v79, vcc
	s_waitcnt lgkmcnt(1)
	v_pk_fma_f16 v96, v38, v94, v49
	v_pk_fma_f16 v50, v38, v95, v50
	;; [unrolled: 1-line block ×8, first 2 shown]
	s_waitcnt lgkmcnt(0)
	v_pk_fma_f16 v103, v42, v94, v48
	ds_read2_b64 v[34:37], v33 offset1:32
	ds_read2_b64 v[38:41], v33 offset0:64 offset1:96
	ds_read2_b64 v[46:49], v33 offset0:128 offset1:160
	;; [unrolled: 1-line block ×3, first 2 shown]
	ds_read2_b64 v[63:66], v32 offset1:32
	ds_read2_b64 v[67:70], v32 offset0:64 offset1:96
	ds_read2_b64 v[71:74], v32 offset0:128 offset1:160
	;; [unrolled: 1-line block ×3, first 2 shown]
	s_waitcnt lgkmcnt(0)
	s_barrier
	global_load_dwordx4 v[79:82], v[83:84], off
	s_nop 0
	global_load_dwordx4 v[83:86], v[83:84], off offset:512
	v_pk_fma_f16 v42, v42, v95, v87
	v_pk_fma_f16 v87, v43, v94, v88
	;; [unrolled: 1-line block ×7, first 2 shown]
	v_mul_u32_u24_sdwa v90, v1, s26 dst_sel:DWORD dst_unused:UNUSED_PAD src0_sel:WORD_0 src1_sel:DWORD
	v_mul_u32_u24_sdwa v1, v1, s26 dst_sel:DWORD dst_unused:UNUSED_PAD src0_sel:WORD_1 src1_sel:DWORD
	v_pk_fma_f16 v91, v34, v90, v96
	v_pk_fma_f16 v34, v34, v1, v50
	;; [unrolled: 1-line block ×16, first 2 shown]
	v_mul_u32_u24_sdwa v41, v2, s26 dst_sel:DWORD dst_unused:UNUSED_PAD src0_sel:WORD_0 src1_sel:DWORD
	v_mul_u32_u24_sdwa v2, v2, s26 dst_sel:DWORD dst_unused:UNUSED_PAD src0_sel:WORD_1 src1_sel:DWORD
	v_pk_fma_f16 v34, v46, v2, v34
	v_pk_fma_f16 v35, v47, v2, v35
	v_pk_fma_f16 v36, v48, v2, v36
	v_pk_fma_f16 v37, v49, v2, v37
	v_pk_fma_f16 v38, v59, v2, v38
	v_pk_fma_f16 v39, v60, v2, v39
	v_pk_fma_f16 v40, v61, v2, v40
	v_pk_fma_f16 v1, v62, v2, v1
	v_mul_u32_u24_sdwa v2, v3, s26 dst_sel:DWORD dst_unused:UNUSED_PAD src0_sel:WORD_0 src1_sel:DWORD
	v_mul_u32_u24_sdwa v3, v3, s26 dst_sel:DWORD dst_unused:UNUSED_PAD src0_sel:WORD_1 src1_sel:DWORD
	v_pk_fma_f16 v34, v63, v3, v34
	v_pk_fma_f16 v35, v64, v3, v35
	v_pk_fma_f16 v36, v65, v3, v36
	v_pk_fma_f16 v37, v66, v3, v37
	v_pk_fma_f16 v38, v67, v3, v38
	v_pk_fma_f16 v39, v68, v3, v39
	v_pk_fma_f16 v40, v69, v3, v40
	v_pk_fma_f16 v1, v70, v3, v1
	;; [unrolled: 10-line block ×3, first 2 shown]
	v_pk_fma_f16 v50, v71, v4, v34
	v_pk_fma_f16 v60, v72, v4, v35
	;; [unrolled: 1-line block ×4, first 2 shown]
	s_waitcnt vmcnt(1)
	ds_write_b128 v21, v[79:82]
	s_waitcnt vmcnt(0)
	ds_write_b128 v22, v[83:86]
	s_waitcnt lgkmcnt(0)
	s_barrier
	ds_read_b128 v[34:37], v20 offset:64
	v_pk_fma_f16 v44, v63, v2, v45
	v_pk_fma_f16 v45, v64, v2, v46
	;; [unrolled: 1-line block ×20, first 2 shown]
	ds_read2_b64 v[38:41], v23 offset1:32
	ds_read2_b64 v[42:45], v23 offset0:64 offset1:96
	ds_read_b128 v[1:4], v20 offset:80
	s_waitcnt lgkmcnt(3)
	v_mul_u32_u24_sdwa v70, v34, s26 dst_sel:DWORD dst_unused:UNUSED_PAD src0_sel:WORD_0 src1_sel:DWORD
	v_mul_u32_u24_sdwa v34, v34, s26 dst_sel:DWORD dst_unused:UNUSED_PAD src0_sel:WORD_1 src1_sel:DWORD
	s_waitcnt lgkmcnt(2)
	v_pk_fma_f16 v49, v38, v70, v49
	v_pk_fma_f16 v50, v38, v34, v50
	;; [unrolled: 1-line block ×8, first 2 shown]
	s_waitcnt lgkmcnt(1)
	v_pk_fma_f16 v48, v42, v70, v48
	v_pk_fma_f16 v63, v42, v34, v63
	;; [unrolled: 1-line block ×7, first 2 shown]
	ds_read2_b64 v[38:41], v23 offset0:128 offset1:160
	v_pk_fma_f16 v34, v45, v34, v69
	ds_read2_b64 v[42:45], v23 offset0:192 offset1:224
	v_mul_u32_u24_sdwa v69, v35, s26 dst_sel:DWORD dst_unused:UNUSED_PAD src0_sel:WORD_0 src1_sel:DWORD
	v_mul_u32_u24_sdwa v35, v35, s26 dst_sel:DWORD dst_unused:UNUSED_PAD src0_sel:WORD_1 src1_sel:DWORD
	s_waitcnt lgkmcnt(1)
	v_pk_fma_f16 v49, v38, v69, v49
	v_pk_fma_f16 v50, v38, v35, v50
	;; [unrolled: 1-line block ×8, first 2 shown]
	s_waitcnt lgkmcnt(0)
	v_pk_fma_f16 v48, v42, v69, v48
	v_pk_fma_f16 v63, v42, v35, v63
	;; [unrolled: 1-line block ×7, first 2 shown]
	ds_read2_b64 v[38:41], v31 offset1:32
	v_pk_fma_f16 v34, v45, v35, v34
	ds_read2_b64 v[42:45], v31 offset0:64 offset1:96
	v_mul_u32_u24_sdwa v35, v36, s26 dst_sel:DWORD dst_unused:UNUSED_PAD src0_sel:WORD_0 src1_sel:DWORD
	v_mul_u32_u24_sdwa v36, v36, s26 dst_sel:DWORD dst_unused:UNUSED_PAD src0_sel:WORD_1 src1_sel:DWORD
	s_waitcnt lgkmcnt(1)
	v_pk_fma_f16 v49, v38, v35, v49
	v_pk_fma_f16 v50, v38, v36, v50
	;; [unrolled: 1-line block ×8, first 2 shown]
	s_waitcnt lgkmcnt(0)
	v_pk_fma_f16 v48, v42, v35, v48
	v_pk_fma_f16 v87, v42, v36, v63
	;; [unrolled: 1-line block ×7, first 2 shown]
	ds_read2_b64 v[38:41], v31 offset0:128 offset1:160
	v_pk_fma_f16 v93, v45, v36, v34
	ds_read2_b64 v[42:45], v31 offset0:192 offset1:224
	s_or_b32 s8, s6, 24
	s_mul_hi_i32 s9, s8, s15
	s_mul_i32 s8, s8, s15
	s_lshl_b64 s[8:9], s[8:9], 2
	v_mov_b32_e32 v79, s9
	v_add_co_u32_e32 v83, vcc, s8, v24
	v_mul_u32_u24_sdwa v94, v37, s26 dst_sel:DWORD dst_unused:UNUSED_PAD src0_sel:WORD_0 src1_sel:DWORD
	v_mul_u32_u24_sdwa v95, v37, s26 dst_sel:DWORD dst_unused:UNUSED_PAD src0_sel:WORD_1 src1_sel:DWORD
	v_addc_co_u32_e32 v84, vcc, v25, v79, vcc
	s_waitcnt lgkmcnt(1)
	v_pk_fma_f16 v96, v38, v94, v49
	v_pk_fma_f16 v50, v38, v95, v50
	;; [unrolled: 1-line block ×8, first 2 shown]
	s_waitcnt lgkmcnt(0)
	v_pk_fma_f16 v103, v42, v94, v48
	ds_read2_b64 v[34:37], v33 offset1:32
	ds_read2_b64 v[38:41], v33 offset0:64 offset1:96
	ds_read2_b64 v[46:49], v33 offset0:128 offset1:160
	;; [unrolled: 1-line block ×3, first 2 shown]
	ds_read2_b64 v[63:66], v32 offset1:32
	ds_read2_b64 v[67:70], v32 offset0:64 offset1:96
	ds_read2_b64 v[71:74], v32 offset0:128 offset1:160
	;; [unrolled: 1-line block ×3, first 2 shown]
	s_waitcnt lgkmcnt(0)
	s_barrier
	global_load_dwordx4 v[79:82], v[83:84], off
	s_nop 0
	global_load_dwordx4 v[83:86], v[83:84], off offset:512
	v_pk_fma_f16 v42, v42, v95, v87
	v_pk_fma_f16 v87, v43, v94, v88
	;; [unrolled: 1-line block ×7, first 2 shown]
	v_mul_u32_u24_sdwa v90, v1, s26 dst_sel:DWORD dst_unused:UNUSED_PAD src0_sel:WORD_0 src1_sel:DWORD
	v_mul_u32_u24_sdwa v1, v1, s26 dst_sel:DWORD dst_unused:UNUSED_PAD src0_sel:WORD_1 src1_sel:DWORD
	v_pk_fma_f16 v91, v34, v90, v96
	v_pk_fma_f16 v34, v34, v1, v50
	;; [unrolled: 1-line block ×16, first 2 shown]
	v_mul_u32_u24_sdwa v41, v2, s26 dst_sel:DWORD dst_unused:UNUSED_PAD src0_sel:WORD_0 src1_sel:DWORD
	v_mul_u32_u24_sdwa v2, v2, s26 dst_sel:DWORD dst_unused:UNUSED_PAD src0_sel:WORD_1 src1_sel:DWORD
	v_pk_fma_f16 v34, v46, v2, v34
	v_pk_fma_f16 v35, v47, v2, v35
	v_pk_fma_f16 v36, v48, v2, v36
	v_pk_fma_f16 v37, v49, v2, v37
	v_pk_fma_f16 v38, v59, v2, v38
	v_pk_fma_f16 v39, v60, v2, v39
	v_pk_fma_f16 v40, v61, v2, v40
	v_pk_fma_f16 v1, v62, v2, v1
	v_mul_u32_u24_sdwa v2, v3, s26 dst_sel:DWORD dst_unused:UNUSED_PAD src0_sel:WORD_0 src1_sel:DWORD
	v_mul_u32_u24_sdwa v3, v3, s26 dst_sel:DWORD dst_unused:UNUSED_PAD src0_sel:WORD_1 src1_sel:DWORD
	v_pk_fma_f16 v34, v63, v3, v34
	v_pk_fma_f16 v35, v64, v3, v35
	v_pk_fma_f16 v36, v65, v3, v36
	v_pk_fma_f16 v37, v66, v3, v37
	v_pk_fma_f16 v38, v67, v3, v38
	v_pk_fma_f16 v39, v68, v3, v39
	v_pk_fma_f16 v40, v69, v3, v40
	v_pk_fma_f16 v1, v70, v3, v1
	;; [unrolled: 10-line block ×3, first 2 shown]
	v_pk_fma_f16 v50, v71, v4, v34
	v_pk_fma_f16 v60, v72, v4, v35
	;; [unrolled: 1-line block ×4, first 2 shown]
	s_waitcnt vmcnt(1)
	ds_write_b128 v21, v[79:82]
	s_waitcnt vmcnt(0)
	ds_write_b128 v22, v[83:86]
	s_waitcnt lgkmcnt(0)
	s_barrier
	ds_read_b128 v[34:37], v20 offset:96
	v_pk_fma_f16 v44, v63, v2, v45
	v_pk_fma_f16 v45, v64, v2, v46
	;; [unrolled: 1-line block ×20, first 2 shown]
	ds_read2_b64 v[38:41], v23 offset1:32
	ds_read2_b64 v[42:45], v23 offset0:64 offset1:96
	ds_read_b128 v[1:4], v20 offset:112
	s_waitcnt lgkmcnt(3)
	v_mul_u32_u24_sdwa v70, v34, s26 dst_sel:DWORD dst_unused:UNUSED_PAD src0_sel:WORD_0 src1_sel:DWORD
	v_mul_u32_u24_sdwa v34, v34, s26 dst_sel:DWORD dst_unused:UNUSED_PAD src0_sel:WORD_1 src1_sel:DWORD
	s_waitcnt lgkmcnt(2)
	v_pk_fma_f16 v49, v38, v70, v49
	v_pk_fma_f16 v50, v38, v34, v50
	;; [unrolled: 1-line block ×8, first 2 shown]
	s_waitcnt lgkmcnt(1)
	v_pk_fma_f16 v48, v42, v70, v48
	v_pk_fma_f16 v63, v42, v34, v63
	v_pk_fma_f16 v64, v43, v70, v64
	v_pk_fma_f16 v65, v43, v34, v65
	v_pk_fma_f16 v66, v44, v70, v66
	v_pk_fma_f16 v67, v44, v34, v67
	v_pk_fma_f16 v68, v45, v70, v68
	ds_read2_b64 v[38:41], v23 offset0:128 offset1:160
	v_pk_fma_f16 v34, v45, v34, v69
	ds_read2_b64 v[42:45], v23 offset0:192 offset1:224
	v_mul_u32_u24_sdwa v69, v35, s26 dst_sel:DWORD dst_unused:UNUSED_PAD src0_sel:WORD_0 src1_sel:DWORD
	v_mul_u32_u24_sdwa v35, v35, s26 dst_sel:DWORD dst_unused:UNUSED_PAD src0_sel:WORD_1 src1_sel:DWORD
	s_waitcnt lgkmcnt(1)
	v_pk_fma_f16 v49, v38, v69, v49
	v_pk_fma_f16 v50, v38, v35, v50
	;; [unrolled: 1-line block ×8, first 2 shown]
	s_waitcnt lgkmcnt(0)
	v_pk_fma_f16 v48, v42, v69, v48
	v_pk_fma_f16 v63, v42, v35, v63
	;; [unrolled: 1-line block ×7, first 2 shown]
	ds_read2_b64 v[38:41], v31 offset1:32
	v_pk_fma_f16 v34, v45, v35, v34
	ds_read2_b64 v[42:45], v31 offset0:64 offset1:96
	v_mul_u32_u24_sdwa v35, v36, s26 dst_sel:DWORD dst_unused:UNUSED_PAD src0_sel:WORD_0 src1_sel:DWORD
	v_mul_u32_u24_sdwa v36, v36, s26 dst_sel:DWORD dst_unused:UNUSED_PAD src0_sel:WORD_1 src1_sel:DWORD
	s_waitcnt lgkmcnt(1)
	v_pk_fma_f16 v49, v38, v35, v49
	v_pk_fma_f16 v50, v38, v36, v50
	;; [unrolled: 1-line block ×8, first 2 shown]
	s_waitcnt lgkmcnt(0)
	v_pk_fma_f16 v48, v42, v35, v48
	v_pk_fma_f16 v87, v42, v36, v63
	;; [unrolled: 1-line block ×7, first 2 shown]
	ds_read2_b64 v[38:41], v31 offset0:128 offset1:160
	v_pk_fma_f16 v93, v45, v36, v34
	ds_read2_b64 v[42:45], v31 offset0:192 offset1:224
	s_or_b32 s8, s6, 32
	s_mul_hi_i32 s9, s8, s15
	s_mul_i32 s8, s8, s15
	s_lshl_b64 s[8:9], s[8:9], 2
	v_mov_b32_e32 v79, s9
	v_add_co_u32_e32 v83, vcc, s8, v24
	v_mul_u32_u24_sdwa v94, v37, s26 dst_sel:DWORD dst_unused:UNUSED_PAD src0_sel:WORD_0 src1_sel:DWORD
	v_mul_u32_u24_sdwa v95, v37, s26 dst_sel:DWORD dst_unused:UNUSED_PAD src0_sel:WORD_1 src1_sel:DWORD
	v_addc_co_u32_e32 v84, vcc, v25, v79, vcc
	s_waitcnt lgkmcnt(1)
	v_pk_fma_f16 v96, v38, v94, v49
	v_pk_fma_f16 v50, v38, v95, v50
	;; [unrolled: 1-line block ×8, first 2 shown]
	s_waitcnt lgkmcnt(0)
	v_pk_fma_f16 v103, v42, v94, v48
	ds_read2_b64 v[34:37], v33 offset1:32
	ds_read2_b64 v[38:41], v33 offset0:64 offset1:96
	ds_read2_b64 v[46:49], v33 offset0:128 offset1:160
	;; [unrolled: 1-line block ×3, first 2 shown]
	ds_read2_b64 v[63:66], v32 offset1:32
	ds_read2_b64 v[67:70], v32 offset0:64 offset1:96
	ds_read2_b64 v[71:74], v32 offset0:128 offset1:160
	;; [unrolled: 1-line block ×3, first 2 shown]
	s_waitcnt lgkmcnt(0)
	s_barrier
	global_load_dwordx4 v[79:82], v[83:84], off
	s_nop 0
	global_load_dwordx4 v[83:86], v[83:84], off offset:512
	v_pk_fma_f16 v42, v42, v95, v87
	v_pk_fma_f16 v87, v43, v94, v88
	;; [unrolled: 1-line block ×7, first 2 shown]
	v_mul_u32_u24_sdwa v90, v1, s26 dst_sel:DWORD dst_unused:UNUSED_PAD src0_sel:WORD_0 src1_sel:DWORD
	v_mul_u32_u24_sdwa v1, v1, s26 dst_sel:DWORD dst_unused:UNUSED_PAD src0_sel:WORD_1 src1_sel:DWORD
	v_pk_fma_f16 v91, v34, v90, v96
	v_pk_fma_f16 v34, v34, v1, v50
	;; [unrolled: 1-line block ×16, first 2 shown]
	v_mul_u32_u24_sdwa v41, v2, s26 dst_sel:DWORD dst_unused:UNUSED_PAD src0_sel:WORD_0 src1_sel:DWORD
	v_mul_u32_u24_sdwa v2, v2, s26 dst_sel:DWORD dst_unused:UNUSED_PAD src0_sel:WORD_1 src1_sel:DWORD
	v_pk_fma_f16 v34, v46, v2, v34
	v_pk_fma_f16 v35, v47, v2, v35
	v_pk_fma_f16 v36, v48, v2, v36
	v_pk_fma_f16 v37, v49, v2, v37
	v_pk_fma_f16 v38, v59, v2, v38
	v_pk_fma_f16 v39, v60, v2, v39
	v_pk_fma_f16 v40, v61, v2, v40
	v_pk_fma_f16 v1, v62, v2, v1
	v_mul_u32_u24_sdwa v2, v3, s26 dst_sel:DWORD dst_unused:UNUSED_PAD src0_sel:WORD_0 src1_sel:DWORD
	v_mul_u32_u24_sdwa v3, v3, s26 dst_sel:DWORD dst_unused:UNUSED_PAD src0_sel:WORD_1 src1_sel:DWORD
	v_pk_fma_f16 v34, v63, v3, v34
	v_pk_fma_f16 v35, v64, v3, v35
	v_pk_fma_f16 v36, v65, v3, v36
	v_pk_fma_f16 v37, v66, v3, v37
	v_pk_fma_f16 v38, v67, v3, v38
	v_pk_fma_f16 v39, v68, v3, v39
	v_pk_fma_f16 v40, v69, v3, v40
	v_pk_fma_f16 v1, v70, v3, v1
	;; [unrolled: 10-line block ×3, first 2 shown]
	v_pk_fma_f16 v50, v71, v4, v34
	v_pk_fma_f16 v60, v72, v4, v35
	;; [unrolled: 1-line block ×4, first 2 shown]
	s_waitcnt vmcnt(1)
	ds_write_b128 v21, v[79:82]
	s_waitcnt vmcnt(0)
	ds_write_b128 v22, v[83:86]
	s_waitcnt lgkmcnt(0)
	s_barrier
	ds_read_b128 v[34:37], v20 offset:128
	v_pk_fma_f16 v44, v63, v2, v45
	v_pk_fma_f16 v45, v64, v2, v46
	;; [unrolled: 1-line block ×20, first 2 shown]
	ds_read2_b64 v[38:41], v23 offset1:32
	ds_read2_b64 v[42:45], v23 offset0:64 offset1:96
	ds_read_b128 v[1:4], v20 offset:144
	s_waitcnt lgkmcnt(3)
	v_mul_u32_u24_sdwa v70, v34, s26 dst_sel:DWORD dst_unused:UNUSED_PAD src0_sel:WORD_0 src1_sel:DWORD
	v_mul_u32_u24_sdwa v34, v34, s26 dst_sel:DWORD dst_unused:UNUSED_PAD src0_sel:WORD_1 src1_sel:DWORD
	s_waitcnt lgkmcnt(2)
	v_pk_fma_f16 v49, v38, v70, v49
	v_pk_fma_f16 v50, v38, v34, v50
	;; [unrolled: 1-line block ×8, first 2 shown]
	s_waitcnt lgkmcnt(1)
	v_pk_fma_f16 v48, v42, v70, v48
	v_pk_fma_f16 v63, v42, v34, v63
	;; [unrolled: 1-line block ×7, first 2 shown]
	ds_read2_b64 v[38:41], v23 offset0:128 offset1:160
	v_pk_fma_f16 v34, v45, v34, v69
	ds_read2_b64 v[42:45], v23 offset0:192 offset1:224
	v_mul_u32_u24_sdwa v69, v35, s26 dst_sel:DWORD dst_unused:UNUSED_PAD src0_sel:WORD_0 src1_sel:DWORD
	v_mul_u32_u24_sdwa v35, v35, s26 dst_sel:DWORD dst_unused:UNUSED_PAD src0_sel:WORD_1 src1_sel:DWORD
	s_waitcnt lgkmcnt(1)
	v_pk_fma_f16 v49, v38, v69, v49
	v_pk_fma_f16 v50, v38, v35, v50
	;; [unrolled: 1-line block ×8, first 2 shown]
	s_waitcnt lgkmcnt(0)
	v_pk_fma_f16 v48, v42, v69, v48
	v_pk_fma_f16 v63, v42, v35, v63
	;; [unrolled: 1-line block ×7, first 2 shown]
	ds_read2_b64 v[38:41], v31 offset1:32
	v_pk_fma_f16 v34, v45, v35, v34
	ds_read2_b64 v[42:45], v31 offset0:64 offset1:96
	v_mul_u32_u24_sdwa v35, v36, s26 dst_sel:DWORD dst_unused:UNUSED_PAD src0_sel:WORD_0 src1_sel:DWORD
	v_mul_u32_u24_sdwa v36, v36, s26 dst_sel:DWORD dst_unused:UNUSED_PAD src0_sel:WORD_1 src1_sel:DWORD
	s_waitcnt lgkmcnt(1)
	v_pk_fma_f16 v49, v38, v35, v49
	v_pk_fma_f16 v50, v38, v36, v50
	;; [unrolled: 1-line block ×8, first 2 shown]
	s_waitcnt lgkmcnt(0)
	v_pk_fma_f16 v48, v42, v35, v48
	v_pk_fma_f16 v87, v42, v36, v63
	;; [unrolled: 1-line block ×7, first 2 shown]
	ds_read2_b64 v[38:41], v31 offset0:128 offset1:160
	v_pk_fma_f16 v93, v45, v36, v34
	ds_read2_b64 v[42:45], v31 offset0:192 offset1:224
	s_or_b32 s8, s6, 40
	s_mul_hi_i32 s9, s8, s15
	s_mul_i32 s8, s8, s15
	s_lshl_b64 s[8:9], s[8:9], 2
	v_mov_b32_e32 v79, s9
	v_add_co_u32_e32 v83, vcc, s8, v24
	v_mul_u32_u24_sdwa v94, v37, s26 dst_sel:DWORD dst_unused:UNUSED_PAD src0_sel:WORD_0 src1_sel:DWORD
	v_mul_u32_u24_sdwa v95, v37, s26 dst_sel:DWORD dst_unused:UNUSED_PAD src0_sel:WORD_1 src1_sel:DWORD
	v_addc_co_u32_e32 v84, vcc, v25, v79, vcc
	s_waitcnt lgkmcnt(1)
	v_pk_fma_f16 v96, v38, v94, v49
	v_pk_fma_f16 v50, v38, v95, v50
	;; [unrolled: 1-line block ×8, first 2 shown]
	s_waitcnt lgkmcnt(0)
	v_pk_fma_f16 v103, v42, v94, v48
	ds_read2_b64 v[34:37], v33 offset1:32
	ds_read2_b64 v[38:41], v33 offset0:64 offset1:96
	ds_read2_b64 v[46:49], v33 offset0:128 offset1:160
	;; [unrolled: 1-line block ×3, first 2 shown]
	ds_read2_b64 v[63:66], v32 offset1:32
	ds_read2_b64 v[67:70], v32 offset0:64 offset1:96
	ds_read2_b64 v[71:74], v32 offset0:128 offset1:160
	;; [unrolled: 1-line block ×3, first 2 shown]
	s_waitcnt lgkmcnt(0)
	s_barrier
	global_load_dwordx4 v[79:82], v[83:84], off
	s_nop 0
	global_load_dwordx4 v[83:86], v[83:84], off offset:512
	v_pk_fma_f16 v42, v42, v95, v87
	v_pk_fma_f16 v87, v43, v94, v88
	;; [unrolled: 1-line block ×7, first 2 shown]
	v_mul_u32_u24_sdwa v90, v1, s26 dst_sel:DWORD dst_unused:UNUSED_PAD src0_sel:WORD_0 src1_sel:DWORD
	v_mul_u32_u24_sdwa v1, v1, s26 dst_sel:DWORD dst_unused:UNUSED_PAD src0_sel:WORD_1 src1_sel:DWORD
	v_pk_fma_f16 v91, v34, v90, v96
	v_pk_fma_f16 v34, v34, v1, v50
	;; [unrolled: 1-line block ×16, first 2 shown]
	v_mul_u32_u24_sdwa v41, v2, s26 dst_sel:DWORD dst_unused:UNUSED_PAD src0_sel:WORD_0 src1_sel:DWORD
	v_mul_u32_u24_sdwa v2, v2, s26 dst_sel:DWORD dst_unused:UNUSED_PAD src0_sel:WORD_1 src1_sel:DWORD
	v_pk_fma_f16 v34, v46, v2, v34
	v_pk_fma_f16 v35, v47, v2, v35
	v_pk_fma_f16 v36, v48, v2, v36
	v_pk_fma_f16 v37, v49, v2, v37
	v_pk_fma_f16 v38, v59, v2, v38
	v_pk_fma_f16 v39, v60, v2, v39
	v_pk_fma_f16 v40, v61, v2, v40
	v_pk_fma_f16 v1, v62, v2, v1
	v_mul_u32_u24_sdwa v2, v3, s26 dst_sel:DWORD dst_unused:UNUSED_PAD src0_sel:WORD_0 src1_sel:DWORD
	v_mul_u32_u24_sdwa v3, v3, s26 dst_sel:DWORD dst_unused:UNUSED_PAD src0_sel:WORD_1 src1_sel:DWORD
	v_pk_fma_f16 v34, v63, v3, v34
	v_pk_fma_f16 v35, v64, v3, v35
	v_pk_fma_f16 v36, v65, v3, v36
	v_pk_fma_f16 v37, v66, v3, v37
	v_pk_fma_f16 v38, v67, v3, v38
	v_pk_fma_f16 v39, v68, v3, v39
	v_pk_fma_f16 v40, v69, v3, v40
	v_pk_fma_f16 v1, v70, v3, v1
	;; [unrolled: 10-line block ×3, first 2 shown]
	v_pk_fma_f16 v50, v71, v4, v34
	v_pk_fma_f16 v60, v72, v4, v35
	;; [unrolled: 1-line block ×4, first 2 shown]
	s_waitcnt vmcnt(1)
	ds_write_b128 v21, v[79:82]
	s_waitcnt vmcnt(0)
	ds_write_b128 v22, v[83:86]
	s_waitcnt lgkmcnt(0)
	s_barrier
	ds_read_b128 v[34:37], v20 offset:160
	v_pk_fma_f16 v44, v63, v2, v45
	v_pk_fma_f16 v45, v64, v2, v46
	;; [unrolled: 1-line block ×20, first 2 shown]
	ds_read2_b64 v[38:41], v23 offset1:32
	ds_read2_b64 v[42:45], v23 offset0:64 offset1:96
	ds_read_b128 v[1:4], v20 offset:176
	s_waitcnt lgkmcnt(3)
	v_mul_u32_u24_sdwa v70, v34, s26 dst_sel:DWORD dst_unused:UNUSED_PAD src0_sel:WORD_0 src1_sel:DWORD
	v_mul_u32_u24_sdwa v34, v34, s26 dst_sel:DWORD dst_unused:UNUSED_PAD src0_sel:WORD_1 src1_sel:DWORD
	s_waitcnt lgkmcnt(2)
	v_pk_fma_f16 v49, v38, v70, v49
	v_pk_fma_f16 v50, v38, v34, v50
	;; [unrolled: 1-line block ×8, first 2 shown]
	s_waitcnt lgkmcnt(1)
	v_pk_fma_f16 v48, v42, v70, v48
	v_pk_fma_f16 v63, v42, v34, v63
	;; [unrolled: 1-line block ×7, first 2 shown]
	ds_read2_b64 v[38:41], v23 offset0:128 offset1:160
	v_pk_fma_f16 v34, v45, v34, v69
	ds_read2_b64 v[42:45], v23 offset0:192 offset1:224
	v_mul_u32_u24_sdwa v69, v35, s26 dst_sel:DWORD dst_unused:UNUSED_PAD src0_sel:WORD_0 src1_sel:DWORD
	v_mul_u32_u24_sdwa v35, v35, s26 dst_sel:DWORD dst_unused:UNUSED_PAD src0_sel:WORD_1 src1_sel:DWORD
	s_waitcnt lgkmcnt(1)
	v_pk_fma_f16 v49, v38, v69, v49
	v_pk_fma_f16 v50, v38, v35, v50
	;; [unrolled: 1-line block ×8, first 2 shown]
	s_waitcnt lgkmcnt(0)
	v_pk_fma_f16 v48, v42, v69, v48
	v_pk_fma_f16 v63, v42, v35, v63
	;; [unrolled: 1-line block ×7, first 2 shown]
	ds_read2_b64 v[38:41], v31 offset1:32
	v_pk_fma_f16 v34, v45, v35, v34
	ds_read2_b64 v[42:45], v31 offset0:64 offset1:96
	v_mul_u32_u24_sdwa v35, v36, s26 dst_sel:DWORD dst_unused:UNUSED_PAD src0_sel:WORD_0 src1_sel:DWORD
	v_mul_u32_u24_sdwa v36, v36, s26 dst_sel:DWORD dst_unused:UNUSED_PAD src0_sel:WORD_1 src1_sel:DWORD
	s_waitcnt lgkmcnt(1)
	v_pk_fma_f16 v49, v38, v35, v49
	v_pk_fma_f16 v50, v38, v36, v50
	;; [unrolled: 1-line block ×8, first 2 shown]
	s_waitcnt lgkmcnt(0)
	v_pk_fma_f16 v48, v42, v35, v48
	v_pk_fma_f16 v87, v42, v36, v63
	;; [unrolled: 1-line block ×7, first 2 shown]
	ds_read2_b64 v[38:41], v31 offset0:128 offset1:160
	v_pk_fma_f16 v93, v45, v36, v34
	ds_read2_b64 v[42:45], v31 offset0:192 offset1:224
	s_or_b32 s8, s6, 48
	s_mul_hi_i32 s9, s8, s15
	s_mul_i32 s8, s8, s15
	s_lshl_b64 s[8:9], s[8:9], 2
	v_mov_b32_e32 v79, s9
	v_add_co_u32_e32 v83, vcc, s8, v24
	v_mul_u32_u24_sdwa v94, v37, s26 dst_sel:DWORD dst_unused:UNUSED_PAD src0_sel:WORD_0 src1_sel:DWORD
	v_mul_u32_u24_sdwa v95, v37, s26 dst_sel:DWORD dst_unused:UNUSED_PAD src0_sel:WORD_1 src1_sel:DWORD
	v_addc_co_u32_e32 v84, vcc, v25, v79, vcc
	s_waitcnt lgkmcnt(1)
	v_pk_fma_f16 v96, v38, v94, v49
	v_pk_fma_f16 v50, v38, v95, v50
	v_pk_fma_f16 v97, v39, v94, v59
	v_pk_fma_f16 v98, v39, v95, v60
	v_pk_fma_f16 v99, v40, v94, v46
	v_pk_fma_f16 v100, v40, v95, v61
	v_pk_fma_f16 v101, v41, v94, v47
	v_pk_fma_f16 v102, v41, v95, v62
	s_waitcnt lgkmcnt(0)
	v_pk_fma_f16 v103, v42, v94, v48
	ds_read2_b64 v[34:37], v33 offset1:32
	ds_read2_b64 v[38:41], v33 offset0:64 offset1:96
	ds_read2_b64 v[46:49], v33 offset0:128 offset1:160
	;; [unrolled: 1-line block ×3, first 2 shown]
	ds_read2_b64 v[63:66], v32 offset1:32
	ds_read2_b64 v[67:70], v32 offset0:64 offset1:96
	ds_read2_b64 v[71:74], v32 offset0:128 offset1:160
	;; [unrolled: 1-line block ×3, first 2 shown]
	s_waitcnt lgkmcnt(0)
	s_barrier
	global_load_dwordx4 v[79:82], v[83:84], off
	s_nop 0
	global_load_dwordx4 v[83:86], v[83:84], off offset:512
	v_pk_fma_f16 v42, v42, v95, v87
	v_pk_fma_f16 v87, v43, v94, v88
	;; [unrolled: 1-line block ×7, first 2 shown]
	v_mul_u32_u24_sdwa v90, v1, s26 dst_sel:DWORD dst_unused:UNUSED_PAD src0_sel:WORD_0 src1_sel:DWORD
	v_mul_u32_u24_sdwa v1, v1, s26 dst_sel:DWORD dst_unused:UNUSED_PAD src0_sel:WORD_1 src1_sel:DWORD
	v_pk_fma_f16 v91, v34, v90, v96
	v_pk_fma_f16 v34, v34, v1, v50
	;; [unrolled: 1-line block ×16, first 2 shown]
	v_mul_u32_u24_sdwa v41, v2, s26 dst_sel:DWORD dst_unused:UNUSED_PAD src0_sel:WORD_0 src1_sel:DWORD
	v_mul_u32_u24_sdwa v2, v2, s26 dst_sel:DWORD dst_unused:UNUSED_PAD src0_sel:WORD_1 src1_sel:DWORD
	v_pk_fma_f16 v34, v46, v2, v34
	v_pk_fma_f16 v35, v47, v2, v35
	v_pk_fma_f16 v36, v48, v2, v36
	v_pk_fma_f16 v37, v49, v2, v37
	v_pk_fma_f16 v38, v59, v2, v38
	v_pk_fma_f16 v39, v60, v2, v39
	v_pk_fma_f16 v40, v61, v2, v40
	v_pk_fma_f16 v1, v62, v2, v1
	v_mul_u32_u24_sdwa v2, v3, s26 dst_sel:DWORD dst_unused:UNUSED_PAD src0_sel:WORD_0 src1_sel:DWORD
	v_mul_u32_u24_sdwa v3, v3, s26 dst_sel:DWORD dst_unused:UNUSED_PAD src0_sel:WORD_1 src1_sel:DWORD
	v_pk_fma_f16 v34, v63, v3, v34
	v_pk_fma_f16 v35, v64, v3, v35
	v_pk_fma_f16 v36, v65, v3, v36
	v_pk_fma_f16 v37, v66, v3, v37
	v_pk_fma_f16 v38, v67, v3, v38
	v_pk_fma_f16 v39, v68, v3, v39
	v_pk_fma_f16 v40, v69, v3, v40
	v_pk_fma_f16 v1, v70, v3, v1
	v_mul_u32_u24_sdwa v3, v4, s26 dst_sel:DWORD dst_unused:UNUSED_PAD src0_sel:WORD_0 src1_sel:DWORD
	v_mul_u32_u24_sdwa v4, v4, s26 dst_sel:DWORD dst_unused:UNUSED_PAD src0_sel:WORD_1 src1_sel:DWORD
	v_pk_fma_f16 v45, v46, v41, v91
	v_pk_fma_f16 v46, v47, v41, v50
	v_pk_fma_f16 v47, v48, v41, v92
	v_pk_fma_f16 v48, v49, v41, v93
	v_pk_fma_f16 v49, v59, v41, v94
	v_pk_fma_f16 v42, v60, v41, v42
	v_pk_fma_f16 v43, v61, v41, v43
	v_pk_fma_f16 v41, v62, v41, v44
	v_pk_fma_f16 v50, v71, v4, v34
	v_pk_fma_f16 v60, v72, v4, v35
	;; [unrolled: 1-line block ×4, first 2 shown]
	s_waitcnt vmcnt(1)
	ds_write_b128 v21, v[79:82]
	s_waitcnt vmcnt(0)
	ds_write_b128 v22, v[83:86]
	s_waitcnt lgkmcnt(0)
	s_barrier
	ds_read_b128 v[34:37], v20 offset:192
	v_pk_fma_f16 v44, v63, v2, v45
	v_pk_fma_f16 v45, v64, v2, v46
	;; [unrolled: 1-line block ×20, first 2 shown]
	ds_read2_b64 v[38:41], v23 offset1:32
	ds_read2_b64 v[42:45], v23 offset0:64 offset1:96
	ds_read_b128 v[1:4], v20 offset:208
	s_waitcnt lgkmcnt(3)
	v_mul_u32_u24_sdwa v70, v34, s26 dst_sel:DWORD dst_unused:UNUSED_PAD src0_sel:WORD_0 src1_sel:DWORD
	v_mul_u32_u24_sdwa v34, v34, s26 dst_sel:DWORD dst_unused:UNUSED_PAD src0_sel:WORD_1 src1_sel:DWORD
	s_waitcnt lgkmcnt(2)
	v_pk_fma_f16 v49, v38, v70, v49
	v_pk_fma_f16 v50, v38, v34, v50
	;; [unrolled: 1-line block ×8, first 2 shown]
	s_waitcnt lgkmcnt(1)
	v_pk_fma_f16 v48, v42, v70, v48
	v_pk_fma_f16 v63, v42, v34, v63
	;; [unrolled: 1-line block ×7, first 2 shown]
	ds_read2_b64 v[38:41], v23 offset0:128 offset1:160
	v_pk_fma_f16 v34, v45, v34, v69
	ds_read2_b64 v[42:45], v23 offset0:192 offset1:224
	v_mul_u32_u24_sdwa v69, v35, s26 dst_sel:DWORD dst_unused:UNUSED_PAD src0_sel:WORD_0 src1_sel:DWORD
	v_mul_u32_u24_sdwa v35, v35, s26 dst_sel:DWORD dst_unused:UNUSED_PAD src0_sel:WORD_1 src1_sel:DWORD
	s_waitcnt lgkmcnt(1)
	v_pk_fma_f16 v49, v38, v69, v49
	v_pk_fma_f16 v50, v38, v35, v50
	v_pk_fma_f16 v59, v39, v69, v59
	v_pk_fma_f16 v60, v39, v35, v60
	v_pk_fma_f16 v46, v40, v69, v46
	v_pk_fma_f16 v61, v40, v35, v61
	v_pk_fma_f16 v47, v41, v69, v47
	v_pk_fma_f16 v62, v41, v35, v62
	s_waitcnt lgkmcnt(0)
	v_pk_fma_f16 v48, v42, v69, v48
	v_pk_fma_f16 v63, v42, v35, v63
	;; [unrolled: 1-line block ×7, first 2 shown]
	ds_read2_b64 v[38:41], v31 offset1:32
	v_pk_fma_f16 v34, v45, v35, v34
	ds_read2_b64 v[42:45], v31 offset0:64 offset1:96
	v_mul_u32_u24_sdwa v35, v36, s26 dst_sel:DWORD dst_unused:UNUSED_PAD src0_sel:WORD_0 src1_sel:DWORD
	v_mul_u32_u24_sdwa v36, v36, s26 dst_sel:DWORD dst_unused:UNUSED_PAD src0_sel:WORD_1 src1_sel:DWORD
	s_waitcnt lgkmcnt(1)
	v_pk_fma_f16 v49, v38, v35, v49
	v_pk_fma_f16 v50, v38, v36, v50
	;; [unrolled: 1-line block ×8, first 2 shown]
	s_waitcnt lgkmcnt(0)
	v_pk_fma_f16 v48, v42, v35, v48
	v_pk_fma_f16 v87, v42, v36, v63
	;; [unrolled: 1-line block ×7, first 2 shown]
	ds_read2_b64 v[38:41], v31 offset0:128 offset1:160
	v_pk_fma_f16 v93, v45, v36, v34
	ds_read2_b64 v[42:45], v31 offset0:192 offset1:224
	s_or_b32 s8, s6, 56
	s_mul_hi_i32 s9, s8, s15
	s_mul_i32 s8, s8, s15
	s_lshl_b64 s[8:9], s[8:9], 2
	v_mov_b32_e32 v79, s9
	v_add_co_u32_e32 v83, vcc, s8, v24
	v_mul_u32_u24_sdwa v94, v37, s26 dst_sel:DWORD dst_unused:UNUSED_PAD src0_sel:WORD_0 src1_sel:DWORD
	v_mul_u32_u24_sdwa v95, v37, s26 dst_sel:DWORD dst_unused:UNUSED_PAD src0_sel:WORD_1 src1_sel:DWORD
	v_addc_co_u32_e32 v84, vcc, v25, v79, vcc
	s_waitcnt lgkmcnt(1)
	v_pk_fma_f16 v96, v38, v94, v49
	v_pk_fma_f16 v50, v38, v95, v50
	;; [unrolled: 1-line block ×8, first 2 shown]
	s_waitcnt lgkmcnt(0)
	v_pk_fma_f16 v103, v42, v94, v48
	ds_read2_b64 v[34:37], v33 offset1:32
	ds_read2_b64 v[38:41], v33 offset0:64 offset1:96
	ds_read2_b64 v[46:49], v33 offset0:128 offset1:160
	;; [unrolled: 1-line block ×3, first 2 shown]
	ds_read2_b64 v[63:66], v32 offset1:32
	ds_read2_b64 v[67:70], v32 offset0:64 offset1:96
	ds_read2_b64 v[71:74], v32 offset0:128 offset1:160
	;; [unrolled: 1-line block ×3, first 2 shown]
	s_waitcnt lgkmcnt(0)
	s_barrier
	global_load_dwordx4 v[79:82], v[83:84], off
	s_nop 0
	global_load_dwordx4 v[83:86], v[83:84], off offset:512
	v_pk_fma_f16 v42, v42, v95, v87
	v_pk_fma_f16 v87, v43, v94, v88
	v_pk_fma_f16 v43, v43, v95, v89
	v_pk_fma_f16 v88, v44, v94, v90
	v_pk_fma_f16 v44, v44, v95, v91
	v_pk_fma_f16 v89, v45, v94, v92
	v_pk_fma_f16 v45, v45, v95, v93
	v_mul_u32_u24_sdwa v90, v1, s26 dst_sel:DWORD dst_unused:UNUSED_PAD src0_sel:WORD_0 src1_sel:DWORD
	v_mul_u32_u24_sdwa v1, v1, s26 dst_sel:DWORD dst_unused:UNUSED_PAD src0_sel:WORD_1 src1_sel:DWORD
	v_pk_fma_f16 v91, v34, v90, v96
	v_pk_fma_f16 v34, v34, v1, v50
	v_pk_fma_f16 v50, v35, v90, v97
	v_pk_fma_f16 v35, v35, v1, v98
	v_pk_fma_f16 v92, v36, v90, v99
	v_pk_fma_f16 v36, v36, v1, v100
	v_pk_fma_f16 v93, v37, v90, v101
	v_pk_fma_f16 v37, v37, v1, v102
	v_pk_fma_f16 v94, v38, v90, v103
	v_pk_fma_f16 v38, v38, v1, v42
	v_pk_fma_f16 v42, v39, v90, v87
	v_pk_fma_f16 v39, v39, v1, v43
	v_pk_fma_f16 v43, v40, v90, v88
	v_pk_fma_f16 v40, v40, v1, v44
	v_pk_fma_f16 v44, v41, v90, v89
	v_pk_fma_f16 v1, v41, v1, v45
	v_mul_u32_u24_sdwa v41, v2, s26 dst_sel:DWORD dst_unused:UNUSED_PAD src0_sel:WORD_0 src1_sel:DWORD
	v_mul_u32_u24_sdwa v2, v2, s26 dst_sel:DWORD dst_unused:UNUSED_PAD src0_sel:WORD_1 src1_sel:DWORD
	v_pk_fma_f16 v45, v46, v41, v91
	v_pk_fma_f16 v34, v46, v2, v34
	v_pk_fma_f16 v46, v47, v41, v50
	v_pk_fma_f16 v35, v47, v2, v35
	v_pk_fma_f16 v47, v48, v41, v92
	v_pk_fma_f16 v36, v48, v2, v36
	v_pk_fma_f16 v48, v49, v41, v93
	v_pk_fma_f16 v37, v49, v2, v37
	v_pk_fma_f16 v49, v59, v41, v94
	;; [unrolled: 18-line block ×3, first 2 shown]
	v_mul_u32_u24_sdwa v1, v4, s26 dst_sel:DWORD dst_unused:UNUSED_PAD src0_sel:WORD_0 src1_sel:DWORD
	v_pk_fma_f16 v34, v63, v3, v34
	v_pk_fma_f16 v35, v64, v3, v35
	;; [unrolled: 1-line block ×7, first 2 shown]
	v_mul_u32_u24_sdwa v49, v4, s26 dst_sel:DWORD dst_unused:UNUSED_PAD src0_sel:WORD_1 src1_sel:DWORD
	v_pk_fma_f16 v50, v71, v1, v44
	v_pk_fma_f16 v60, v72, v1, v45
	;; [unrolled: 1-line block ×8, first 2 shown]
	s_waitcnt vmcnt(1)
	ds_write_b128 v21, v[79:82]
	s_waitcnt vmcnt(0)
	ds_write_b128 v22, v[83:86]
	s_waitcnt lgkmcnt(0)
	s_barrier
	ds_read_b128 v[1:4], v20 offset:224
	v_pk_fma_f16 v59, v71, v49, v34
	v_pk_fma_f16 v61, v72, v49, v35
	;; [unrolled: 1-line block ×8, first 2 shown]
	ds_read2_b64 v[34:37], v23 offset1:32
	ds_read2_b64 v[38:41], v23 offset0:64 offset1:96
	ds_read_b128 v[42:45], v20 offset:240
	s_waitcnt lgkmcnt(3)
	v_mul_u32_u24_sdwa v70, v1, s26 dst_sel:DWORD dst_unused:UNUSED_PAD src0_sel:WORD_0 src1_sel:DWORD
	v_mul_u32_u24_sdwa v1, v1, s26 dst_sel:DWORD dst_unused:UNUSED_PAD src0_sel:WORD_1 src1_sel:DWORD
	s_waitcnt lgkmcnt(2)
	v_pk_fma_f16 v50, v34, v70, v50
	v_pk_fma_f16 v59, v34, v1, v59
	;; [unrolled: 1-line block ×8, first 2 shown]
	s_waitcnt lgkmcnt(1)
	v_pk_fma_f16 v48, v38, v70, v48
	v_pk_fma_f16 v64, v38, v1, v64
	;; [unrolled: 1-line block ×7, first 2 shown]
	ds_read2_b64 v[34:37], v23 offset0:128 offset1:160
	v_pk_fma_f16 v1, v41, v1, v49
	ds_read2_b64 v[38:41], v23 offset0:192 offset1:224
	v_mul_u32_u24_sdwa v49, v2, s26 dst_sel:DWORD dst_unused:UNUSED_PAD src0_sel:WORD_0 src1_sel:DWORD
	v_mul_u32_u24_sdwa v2, v2, s26 dst_sel:DWORD dst_unused:UNUSED_PAD src0_sel:WORD_1 src1_sel:DWORD
	s_waitcnt lgkmcnt(1)
	v_pk_fma_f16 v50, v34, v49, v50
	v_pk_fma_f16 v59, v34, v2, v59
	;; [unrolled: 1-line block ×8, first 2 shown]
	s_waitcnt lgkmcnt(0)
	v_pk_fma_f16 v48, v38, v49, v48
	v_pk_fma_f16 v64, v38, v2, v64
	;; [unrolled: 1-line block ×7, first 2 shown]
	ds_read2_b64 v[34:37], v31 offset1:32
	v_pk_fma_f16 v1, v41, v2, v1
	ds_read2_b64 v[38:41], v31 offset0:64 offset1:96
	v_mul_u32_u24_sdwa v2, v3, s26 dst_sel:DWORD dst_unused:UNUSED_PAD src0_sel:WORD_0 src1_sel:DWORD
	v_mul_u32_u24_sdwa v3, v3, s26 dst_sel:DWORD dst_unused:UNUSED_PAD src0_sel:WORD_1 src1_sel:DWORD
	s_waitcnt lgkmcnt(1)
	v_pk_fma_f16 v50, v34, v2, v50
	v_pk_fma_f16 v59, v34, v3, v59
	;; [unrolled: 1-line block ×8, first 2 shown]
	s_waitcnt lgkmcnt(0)
	v_pk_fma_f16 v48, v38, v2, v48
	v_pk_fma_f16 v64, v38, v3, v64
	;; [unrolled: 1-line block ×7, first 2 shown]
	ds_read2_b64 v[34:37], v31 offset0:128 offset1:160
	v_pk_fma_f16 v49, v41, v3, v1
	ds_read2_b64 v[38:41], v31 offset0:192 offset1:224
	v_mul_u32_u24_sdwa v1, v4, s26 dst_sel:DWORD dst_unused:UNUSED_PAD src0_sel:WORD_0 src1_sel:DWORD
	v_mul_u32_u24_sdwa v31, v4, s26 dst_sel:DWORD dst_unused:UNUSED_PAD src0_sel:WORD_1 src1_sel:DWORD
	s_waitcnt lgkmcnt(1)
	v_pk_fma_f16 v50, v34, v1, v50
	v_pk_fma_f16 v59, v34, v31, v59
	v_pk_fma_f16 v60, v35, v1, v60
	v_pk_fma_f16 v61, v35, v31, v61
	v_pk_fma_f16 v46, v36, v1, v46
	v_pk_fma_f16 v62, v36, v31, v62
	v_pk_fma_f16 v47, v37, v1, v47
	v_pk_fma_f16 v63, v37, v31, v63
	s_waitcnt lgkmcnt(0)
	v_pk_fma_f16 v48, v38, v1, v48
	v_pk_fma_f16 v38, v38, v31, v64
	;; [unrolled: 1-line block ×6, first 2 shown]
	ds_read2_b64 v[1:4], v33 offset1:32
	ds_read2_b64 v[34:37], v33 offset0:64 offset1:96
	v_pk_fma_f16 v40, v40, v31, v68
	v_pk_fma_f16 v31, v41, v31, v49
	v_mul_u32_u24_sdwa v41, v42, s26 dst_sel:DWORD dst_unused:UNUSED_PAD src0_sel:WORD_0 src1_sel:DWORD
	v_mul_u32_u24_sdwa v42, v42, s26 dst_sel:DWORD dst_unused:UNUSED_PAD src0_sel:WORD_1 src1_sel:DWORD
	s_waitcnt lgkmcnt(1)
	v_pk_fma_f16 v49, v1, v41, v50
	v_pk_fma_f16 v50, v1, v42, v59
	v_pk_fma_f16 v59, v2, v41, v60
	v_pk_fma_f16 v60, v2, v42, v61
	v_pk_fma_f16 v46, v3, v41, v46
	v_pk_fma_f16 v61, v3, v42, v62
	v_pk_fma_f16 v47, v4, v41, v47
	v_pk_fma_f16 v62, v4, v42, v63
	s_waitcnt lgkmcnt(0)
	v_pk_fma_f16 v48, v34, v41, v48
	v_pk_fma_f16 v38, v34, v42, v38
	;; [unrolled: 1-line block ×6, first 2 shown]
	ds_read2_b64 v[1:4], v33 offset0:128 offset1:160
	ds_read2_b64 v[33:36], v33 offset0:192 offset1:224
	v_pk_fma_f16 v41, v37, v41, v66
	v_pk_fma_f16 v31, v37, v42, v31
	v_mul_u32_u24_sdwa v37, v43, s26 dst_sel:DWORD dst_unused:UNUSED_PAD src0_sel:WORD_0 src1_sel:DWORD
	v_mul_u32_u24_sdwa v42, v43, s26 dst_sel:DWORD dst_unused:UNUSED_PAD src0_sel:WORD_1 src1_sel:DWORD
	s_waitcnt lgkmcnt(1)
	v_pk_fma_f16 v43, v1, v37, v49
	v_pk_fma_f16 v49, v1, v42, v50
	;; [unrolled: 1-line block ×8, first 2 shown]
	s_waitcnt lgkmcnt(0)
	v_pk_fma_f16 v48, v33, v37, v48
	v_pk_fma_f16 v38, v33, v42, v38
	;; [unrolled: 1-line block ×7, first 2 shown]
	ds_read2_b64 v[1:4], v32 offset1:32
	v_pk_fma_f16 v31, v36, v42, v31
	ds_read2_b64 v[33:36], v32 offset0:64 offset1:96
	v_mul_u32_u24_sdwa v41, v44, s26 dst_sel:DWORD dst_unused:UNUSED_PAD src0_sel:WORD_0 src1_sel:DWORD
	v_mul_u32_u24_sdwa v42, v44, s26 dst_sel:DWORD dst_unused:UNUSED_PAD src0_sel:WORD_1 src1_sel:DWORD
	s_waitcnt lgkmcnt(1)
	v_pk_fma_f16 v43, v1, v41, v43
	v_pk_fma_f16 v44, v1, v42, v49
	;; [unrolled: 1-line block ×8, first 2 shown]
	s_waitcnt lgkmcnt(0)
	v_pk_fma_f16 v67, v33, v41, v48
	ds_read2_b64 v[1:4], v32 offset0:128 offset1:160
	ds_read2_b64 v[47:50], v32 offset0:192 offset1:224
	s_waitcnt lgkmcnt(0)
	s_barrier
	s_load_dword s8, s[0:1], 0x4
	v_pk_fma_f16 v33, v33, v42, v38
	v_pk_fma_f16 v62, v34, v41, v62
	;; [unrolled: 1-line block ×4, first 2 shown]
	s_waitcnt lgkmcnt(0)
	s_lshl_b32 s8, s8, 6
	v_pk_fma_f16 v68, v35, v42, v40
	v_pk_fma_f16 v41, v36, v41, v37
	v_pk_fma_f16 v31, v36, v42, v31
	v_mul_u32_u24_sdwa v69, v45, s26 dst_sel:DWORD dst_unused:UNUSED_PAD src0_sel:WORD_0 src1_sel:DWORD
	v_mul_u32_u24_sdwa v70, v45, s26 dst_sel:DWORD dst_unused:UNUSED_PAD src0_sel:WORD_1 src1_sel:DWORD
	s_add_i32 s6, s8, s6
	v_pk_fma_f16 v39, v1, v69, v43
	v_pk_fma_f16 v35, v1, v70, v44
	;; [unrolled: 1-line block ×15, first 2 shown]
	s_cmp_ge_i32 s6, s28
	v_pk_fma_f16 v31, v50, v70, v31
	s_cbranch_scc1 .LBB24_11
; %bb.33:                               ;   in Loop: Header=BB24_16 Depth=1
	v_mov_b32_e32 v50, v10
	v_mov_b32_e32 v48, v11
	;; [unrolled: 1-line block ×4, first 2 shown]
	s_branch .LBB24_16
.LBB24_34:
                                        ; implicit-def: $vgpr6
                                        ; implicit-def: $vgpr3_vgpr4
.LBB24_35:
	v_ashrrev_i32_e32 v6, 31, v5
	v_lshlrev_b64 v[3:4], 2, v[5:6]
	v_mov_b32_e32 v6, s17
	v_add_co_u32_e32 v3, vcc, s16, v3
	v_addc_co_u32_e32 v4, vcc, v6, v4, vcc
	global_load_dwordx2 v[3:4], v[3:4], off
	v_max_f32_e32 v6, v10, v10
	v_max_f32_e32 v7, v11, v11
	s_mov_b32 s0, 0x3fb8aa3b
	s_mov_b32 s1, 0xc2ce8ed0
	s_mov_b32 s6, 0x42b17218
	v_mov_b32_e32 v8, 0x7f800000
	s_waitcnt vmcnt(0)
	v_max_f32_e32 v9, v3, v3
	v_max_f32_e32 v14, v4, v4
	;; [unrolled: 1-line block ×4, first 2 shown]
	v_sub_f32_e32 v9, v10, v6
	v_sub_f32_e32 v14, v11, v7
	v_mov_b32_e32 v11, v7
	v_sub_f32_e32 v3, v3, v6
	v_mov_b32_e32 v10, v6
	v_mul_f32_e32 v6, 0x3fb8aa3b, v9
	v_sub_f32_e32 v4, v4, v7
	v_mul_f32_e32 v7, 0x3fb8aa3b, v3
	v_fma_f32 v17, v9, s0, -v6
	v_rndne_f32_e32 v18, v6
	v_mul_f32_e32 v15, 0x3fb8aa3b, v14
	v_fma_f32 v19, v3, s0, -v7
	v_rndne_f32_e32 v20, v7
	v_fmac_f32_e32 v17, 0x32a5705f, v9
	v_sub_f32_e32 v6, v6, v18
	v_mul_f32_e32 v16, 0x3fb8aa3b, v4
	v_fma_f32 v21, v14, s0, -v15
	v_rndne_f32_e32 v22, v15
	v_fmac_f32_e32 v19, 0x32a5705f, v3
	v_sub_f32_e32 v7, v7, v20
	v_add_f32_e32 v6, v6, v17
	v_fma_f32 v23, v4, s0, -v16
	v_rndne_f32_e32 v24, v16
	v_cvt_i32_f32_e32 v18, v18
	v_fmac_f32_e32 v21, 0x32a5705f, v14
	v_sub_f32_e32 v15, v15, v22
	v_add_f32_e32 v7, v7, v19
	v_exp_f32_e32 v6, v6
	v_cvt_i32_f32_e32 v20, v20
	v_fmac_f32_e32 v23, 0x32a5705f, v4
	v_sub_f32_e32 v16, v16, v24
	v_add_f32_e32 v15, v15, v21
	v_exp_f32_e32 v7, v7
	v_cvt_i32_f32_e32 v22, v22
	v_add_f32_e32 v16, v16, v23
	v_exp_f32_e32 v15, v15
	v_cvt_i32_f32_e32 v24, v24
	v_exp_f32_e32 v16, v16
	v_ldexp_f32 v6, v6, v18
	v_cmp_ngt_f32_e32 vcc, s1, v9
	v_ldexp_f32 v7, v7, v20
	v_cndmask_b32_e32 v6, 0, v6, vcc
	v_cmp_ngt_f32_e32 vcc, s1, v3
	v_ldexp_f32 v15, v15, v22
	v_cndmask_b32_e32 v7, 0, v7, vcc
	;; [unrolled: 3-line block ×3, first 2 shown]
	v_cmp_ngt_f32_e32 vcc, s1, v4
	v_cndmask_b32_e32 v16, 0, v16, vcc
	v_cmp_nlt_f32_e32 vcc, s6, v9
	v_cndmask_b32_e32 v6, v8, v6, vcc
	v_cmp_nlt_f32_e32 vcc, s6, v3
	;; [unrolled: 2-line block ×4, first 2 shown]
	v_cndmask_b32_e32 v4, v8, v16, vcc
	v_fmac_f32_e32 v3, v1, v6
	v_cvt_f16_f32_e32 v6, v6
	v_cvt_f16_f32_e32 v8, v7
	v_fmac_f32_e32 v4, v2, v7
	v_mov_b32_e32 v1, v3
	v_mul_u32_u24_e32 v2, 0x10001, v6
	v_mul_u32_u24_e32 v6, 0x10001, v8
	v_pk_mul_f16 v39, v39, v2
	v_pk_mul_f16 v46, v46, v2
	v_pk_mul_f16 v44, v44, v2
	v_pk_mul_f16 v45, v45, v2
	v_pk_mul_f16 v42, v42, v2
	v_pk_mul_f16 v43, v43, v2
	v_pk_mul_f16 v40, v40, v2
	v_pk_mul_f16 v41, v41, v2
	v_pk_mul_f16 v35, v35, v6
	v_pk_mul_f16 v38, v38, v6
	v_pk_mul_f16 v36, v36, v6
	v_pk_mul_f16 v37, v37, v6
	v_pk_mul_f16 v33, v33, v6
	v_pk_mul_f16 v34, v34, v6
	v_pk_mul_f16 v32, v32, v6
	v_pk_mul_f16 v31, v31, v6
	v_mov_b32_e32 v2, v4
.LBB24_36:
	s_load_dword s6, s[4:5], 0xd4
	v_mov_b32_e32 v6, 1.0
	s_waitcnt lgkmcnt(0)
	s_cmp_lg_u32 s6, 1
	s_cselect_b64 s[0:1], -1, 0
	s_cmp_eq_u32 s6, 1
	s_cselect_b64 s[4:5], -1, 0
	s_and_b64 vcc, exec, s[0:1]
	s_cbranch_vccnz .LBB24_38
; %bb.37:
	v_div_scale_f32 v6, s[8:9], v1, v1, 1.0
	v_div_scale_f32 v7, vcc, 1.0, v1, 1.0
	v_rcp_f32_e32 v8, v6
	v_fma_f32 v9, -v6, v8, 1.0
	v_fmac_f32_e32 v8, v9, v8
	v_mul_f32_e32 v9, v7, v8
	v_fma_f32 v14, -v6, v9, v7
	v_fmac_f32_e32 v9, v14, v8
	v_fma_f32 v6, -v6, v9, v7
	v_div_fmas_f32 v6, v6, v8, v9
	v_div_fixup_f32 v6, v6, v1, 1.0
.LBB24_38:
	s_mul_i32 s33, s33, s2
	v_add_u32_e32 v1, s33, v12
	v_mad_u64_u32 v[7:8], s[2:3], v1, s3, v[5:6]
	v_cmp_eq_u32_e32 vcc, 0, v0
	v_cvt_f32_f16_e32 v8, v39
	v_mul_lo_u32 v0, s6, v7
	v_cvt_f32_f16_sdwa v7, v39 dst_sel:DWORD dst_unused:UNUSED_PAD src0_sel:WORD_1
	v_cvt_f32_f16_sdwa v1, v46 dst_sel:DWORD dst_unused:UNUSED_PAD src0_sel:WORD_1
	v_cvt_f32_f16_e32 v5, v46
	v_add_u32_e32 v0, s7, v0
	v_lshl_add_u32 v18, v0, 9, v13
	v_mov_b32_e32 v19, 0
	v_mul_f32_e32 v15, v6, v7
	v_mul_f32_e32 v14, v6, v8
	v_lshlrev_b64 v[7:8], 2, v[18:19]
	s_and_b64 s[0:1], vcc, s[0:1]
	v_mul_f32_e32 v17, v6, v1
	v_mov_b32_e32 v1, s21
	v_add_co_u32_e32 v7, vcc, s20, v7
	v_mul_f32_e32 v16, v6, v5
	v_addc_co_u32_e32 v8, vcc, v1, v8, vcc
	global_store_dwordx4 v[7:8], v[14:17], off
	v_cvt_f32_f16_sdwa v7, v44 dst_sel:DWORD dst_unused:UNUSED_PAD src0_sel:WORD_1
	v_cvt_f32_f16_e32 v8, v44
	v_cvt_f32_f16_sdwa v1, v45 dst_sel:DWORD dst_unused:UNUSED_PAD src0_sel:WORD_1
	v_cvt_f32_f16_e32 v5, v45
	v_mul_f32_e32 v15, v6, v7
	v_mul_f32_e32 v14, v6, v8
	v_add_u32_e32 v7, 0x80, v18
	v_mov_b32_e32 v8, v19
	v_lshlrev_b64 v[7:8], 2, v[7:8]
	v_mul_f32_e32 v17, v6, v1
	v_mov_b32_e32 v1, s21
	v_add_co_u32_e32 v7, vcc, s20, v7
	v_mul_f32_e32 v16, v6, v5
	v_addc_co_u32_e32 v8, vcc, v1, v8, vcc
	global_store_dwordx4 v[7:8], v[14:17], off
	v_cvt_f32_f16_sdwa v7, v42 dst_sel:DWORD dst_unused:UNUSED_PAD src0_sel:WORD_1
	v_cvt_f32_f16_e32 v8, v42
	v_cvt_f32_f16_sdwa v1, v43 dst_sel:DWORD dst_unused:UNUSED_PAD src0_sel:WORD_1
	v_cvt_f32_f16_e32 v5, v43
	v_mul_f32_e32 v15, v6, v7
	v_mul_f32_e32 v14, v6, v8
	v_add_u32_e32 v7, 0x100, v18
	v_mov_b32_e32 v8, v19
	v_lshlrev_b64 v[7:8], 2, v[7:8]
	v_mul_f32_e32 v17, v6, v1
	v_mov_b32_e32 v1, s21
	v_add_co_u32_e32 v7, vcc, s20, v7
	v_mul_f32_e32 v16, v6, v5
	v_addc_co_u32_e32 v8, vcc, v1, v8, vcc
	v_cvt_f32_f16_sdwa v1, v41 dst_sel:DWORD dst_unused:UNUSED_PAD src0_sel:WORD_1
	global_store_dwordx4 v[7:8], v[14:17], off
	v_cvt_f32_f16_e32 v5, v41
	v_cvt_f32_f16_sdwa v7, v40 dst_sel:DWORD dst_unused:UNUSED_PAD src0_sel:WORD_1
	v_cvt_f32_f16_e32 v12, v40
	v_add_u32_e32 v18, 0x180, v18
	v_lshlrev_b64 v[14:15], 2, v[18:19]
	v_mul_f32_e32 v9, v6, v1
	v_mov_b32_e32 v1, s21
	v_add_co_u32_e32 v14, vcc, s20, v14
	v_mul_f32_e32 v8, v6, v5
	v_mul_f32_e32 v7, v6, v7
	;; [unrolled: 1-line block ×3, first 2 shown]
	v_addc_co_u32_e32 v15, vcc, v1, v15, vcc
	global_store_dwordx4 v[14:15], v[6:9], off
	s_and_saveexec_b64 s[2:3], s[0:1]
	s_cbranch_execz .LBB24_40
; %bb.39:
	v_ashrrev_i32_e32 v1, 31, v0
	v_lshlrev_b64 v[5:6], 3, v[0:1]
	v_mov_b32_e32 v1, s23
	v_add_co_u32_e32 v5, vcc, s22, v5
	v_addc_co_u32_e32 v6, vcc, v1, v6, vcc
	v_mov_b32_e32 v7, v10
	v_mov_b32_e32 v8, v3
	global_store_dwordx2 v[5:6], v[7:8], off
.LBB24_40:
	s_or_b64 exec, exec, s[2:3]
	s_andn2_b64 vcc, exec, s[4:5]
	v_mov_b32_e32 v1, 1.0
	s_cbranch_vccnz .LBB24_42
; %bb.41:
	v_div_scale_f32 v1, s[2:3], v2, v2, 1.0
	v_div_scale_f32 v3, vcc, 1.0, v2, 1.0
	v_rcp_f32_e32 v5, v1
	v_fma_f32 v6, -v1, v5, 1.0
	v_fmac_f32_e32 v5, v6, v5
	v_mul_f32_e32 v6, v3, v5
	v_fma_f32 v7, -v1, v6, v3
	v_fmac_f32_e32 v6, v7, v5
	v_fma_f32 v1, -v1, v6, v3
	v_div_fmas_f32 v1, v1, v5, v6
	v_div_fixup_f32 v1, v1, v2, 1.0
.LBB24_42:
	v_cvt_f32_f16_sdwa v3, v38 dst_sel:DWORD dst_unused:UNUSED_PAD src0_sel:WORD_1
	v_cvt_f32_f16_e32 v5, v38
	v_cvt_f32_f16_e32 v9, v35
	v_add_u32_e32 v0, s6, v0
	v_lshl_add_u32 v2, v0, 9, v13
	v_cvt_f32_f16_sdwa v6, v35 dst_sel:DWORD dst_unused:UNUSED_PAD src0_sel:WORD_1
	v_mul_f32_e32 v8, v1, v3
	v_mov_b32_e32 v3, 0
	v_mul_f32_e32 v7, v1, v5
	v_mul_f32_e32 v5, v1, v9
	v_lshlrev_b64 v[9:10], 2, v[2:3]
	v_mov_b32_e32 v12, s21
	v_add_co_u32_e32 v9, vcc, s20, v9
	v_mul_f32_e32 v6, v1, v6
	v_addc_co_u32_e32 v10, vcc, v12, v10, vcc
	global_store_dwordx4 v[9:10], v[5:8], off
	v_cvt_f32_f16_sdwa v9, v36 dst_sel:DWORD dst_unused:UNUSED_PAD src0_sel:WORD_1
	v_cvt_f32_f16_sdwa v5, v37 dst_sel:DWORD dst_unused:UNUSED_PAD src0_sel:WORD_1
	v_cvt_f32_f16_e32 v6, v37
	v_cvt_f32_f16_e32 v10, v36
	v_mul_f32_e32 v8, v1, v5
	v_mul_f32_e32 v7, v1, v6
	;; [unrolled: 1-line block ×4, first 2 shown]
	v_add_u32_e32 v9, 0x80, v2
	v_mov_b32_e32 v10, v3
	v_lshlrev_b64 v[9:10], 2, v[9:10]
	v_add_co_u32_e32 v9, vcc, s20, v9
	v_addc_co_u32_e32 v10, vcc, v12, v10, vcc
	global_store_dwordx4 v[9:10], v[5:8], off
	v_cvt_f32_f16_sdwa v9, v33 dst_sel:DWORD dst_unused:UNUSED_PAD src0_sel:WORD_1
	v_cvt_f32_f16_sdwa v5, v34 dst_sel:DWORD dst_unused:UNUSED_PAD src0_sel:WORD_1
	v_cvt_f32_f16_e32 v6, v34
	v_cvt_f32_f16_e32 v10, v33
	v_mul_f32_e32 v8, v1, v5
	v_mul_f32_e32 v7, v1, v6
	;; [unrolled: 1-line block ×4, first 2 shown]
	v_add_u32_e32 v9, 0x100, v2
	v_mov_b32_e32 v10, v3
	v_lshlrev_b64 v[9:10], 2, v[9:10]
	v_add_u32_e32 v2, 0x180, v2
	v_add_co_u32_e32 v9, vcc, s20, v9
	v_addc_co_u32_e32 v10, vcc, v12, v10, vcc
	global_store_dwordx4 v[9:10], v[5:8], off
	v_cvt_f32_f16_sdwa v9, v32 dst_sel:DWORD dst_unused:UNUSED_PAD src0_sel:WORD_1
	v_cvt_f32_f16_sdwa v5, v31 dst_sel:DWORD dst_unused:UNUSED_PAD src0_sel:WORD_1
	v_cvt_f32_f16_e32 v6, v31
	v_cvt_f32_f16_e32 v10, v32
	v_mul_f32_e32 v8, v1, v5
	v_mul_f32_e32 v7, v1, v6
	;; [unrolled: 1-line block ×4, first 2 shown]
	v_lshlrev_b64 v[1:2], 2, v[2:3]
	v_mov_b32_e32 v3, s21
	v_add_co_u32_e32 v1, vcc, s20, v1
	v_addc_co_u32_e32 v2, vcc, v3, v2, vcc
	global_store_dwordx4 v[1:2], v[5:8], off
	s_and_saveexec_b64 s[2:3], s[0:1]
	s_cbranch_execz .LBB24_44
; %bb.43:
	v_ashrrev_i32_e32 v1, 31, v0
	v_lshlrev_b64 v[0:1], 3, v[0:1]
	v_mov_b32_e32 v2, s23
	v_add_co_u32_e32 v0, vcc, s22, v0
	v_addc_co_u32_e32 v1, vcc, v2, v1, vcc
	v_mov_b32_e32 v3, v11
	global_store_dwordx2 v[0:1], v[3:4], off
.LBB24_44:
	s_endpgm
	.section	.rodata,"a",@progbits
	.p2align	6, 0x0
	.amdhsa_kernel _ZL15flash_attn_tileILi576ELi512ELi1ELi16ELb1EEvPKcS1_S1_S1_S1_PKiPfP15HIP_vector_typeIfLj2EEffffjfiS5_IjLj3EEiiiiiiiiiiiliiliiiiil
		.amdhsa_group_segment_fixed_size 29696
		.amdhsa_private_segment_fixed_size 0
		.amdhsa_kernarg_size 464
		.amdhsa_user_sgpr_count 6
		.amdhsa_user_sgpr_private_segment_buffer 1
		.amdhsa_user_sgpr_dispatch_ptr 0
		.amdhsa_user_sgpr_queue_ptr 0
		.amdhsa_user_sgpr_kernarg_segment_ptr 1
		.amdhsa_user_sgpr_dispatch_id 0
		.amdhsa_user_sgpr_flat_scratch_init 0
		.amdhsa_user_sgpr_private_segment_size 0
		.amdhsa_uses_dynamic_stack 0
		.amdhsa_system_sgpr_private_segment_wavefront_offset 0
		.amdhsa_system_sgpr_workgroup_id_x 1
		.amdhsa_system_sgpr_workgroup_id_y 1
		.amdhsa_system_sgpr_workgroup_id_z 1
		.amdhsa_system_sgpr_workgroup_info 0
		.amdhsa_system_vgpr_workitem_id 1
		.amdhsa_next_free_vgpr 106
		.amdhsa_next_free_sgpr 98
		.amdhsa_reserve_vcc 1
		.amdhsa_reserve_flat_scratch 0
		.amdhsa_float_round_mode_32 0
		.amdhsa_float_round_mode_16_64 0
		.amdhsa_float_denorm_mode_32 3
		.amdhsa_float_denorm_mode_16_64 3
		.amdhsa_dx10_clamp 1
		.amdhsa_ieee_mode 1
		.amdhsa_fp16_overflow 0
		.amdhsa_exception_fp_ieee_invalid_op 0
		.amdhsa_exception_fp_denorm_src 0
		.amdhsa_exception_fp_ieee_div_zero 0
		.amdhsa_exception_fp_ieee_overflow 0
		.amdhsa_exception_fp_ieee_underflow 0
		.amdhsa_exception_fp_ieee_inexact 0
		.amdhsa_exception_int_div_zero 0
	.end_amdhsa_kernel
	.section	.text._ZL15flash_attn_tileILi576ELi512ELi1ELi16ELb1EEvPKcS1_S1_S1_S1_PKiPfP15HIP_vector_typeIfLj2EEffffjfiS5_IjLj3EEiiiiiiiiiiiliiliiiiil,"axG",@progbits,_ZL15flash_attn_tileILi576ELi512ELi1ELi16ELb1EEvPKcS1_S1_S1_S1_PKiPfP15HIP_vector_typeIfLj2EEffffjfiS5_IjLj3EEiiiiiiiiiiiliiliiiiil,comdat
.Lfunc_end24:
	.size	_ZL15flash_attn_tileILi576ELi512ELi1ELi16ELb1EEvPKcS1_S1_S1_S1_PKiPfP15HIP_vector_typeIfLj2EEffffjfiS5_IjLj3EEiiiiiiiiiiiliiliiiiil, .Lfunc_end24-_ZL15flash_attn_tileILi576ELi512ELi1ELi16ELb1EEvPKcS1_S1_S1_S1_PKiPfP15HIP_vector_typeIfLj2EEffffjfiS5_IjLj3EEiiiiiiiiiiiliiliiiiil
                                        ; -- End function
	.set _ZL15flash_attn_tileILi576ELi512ELi1ELi16ELb1EEvPKcS1_S1_S1_S1_PKiPfP15HIP_vector_typeIfLj2EEffffjfiS5_IjLj3EEiiiiiiiiiiiliiliiiiil.num_vgpr, 106
	.set _ZL15flash_attn_tileILi576ELi512ELi1ELi16ELb1EEvPKcS1_S1_S1_S1_PKiPfP15HIP_vector_typeIfLj2EEffffjfiS5_IjLj3EEiiiiiiiiiiiliiliiiiil.num_agpr, 0
	.set _ZL15flash_attn_tileILi576ELi512ELi1ELi16ELb1EEvPKcS1_S1_S1_S1_PKiPfP15HIP_vector_typeIfLj2EEffffjfiS5_IjLj3EEiiiiiiiiiiiliiliiiiil.numbered_sgpr, 44
	.set _ZL15flash_attn_tileILi576ELi512ELi1ELi16ELb1EEvPKcS1_S1_S1_S1_PKiPfP15HIP_vector_typeIfLj2EEffffjfiS5_IjLj3EEiiiiiiiiiiiliiliiiiil.num_named_barrier, 0
	.set _ZL15flash_attn_tileILi576ELi512ELi1ELi16ELb1EEvPKcS1_S1_S1_S1_PKiPfP15HIP_vector_typeIfLj2EEffffjfiS5_IjLj3EEiiiiiiiiiiiliiliiiiil.private_seg_size, 0
	.set _ZL15flash_attn_tileILi576ELi512ELi1ELi16ELb1EEvPKcS1_S1_S1_S1_PKiPfP15HIP_vector_typeIfLj2EEffffjfiS5_IjLj3EEiiiiiiiiiiiliiliiiiil.uses_vcc, 1
	.set _ZL15flash_attn_tileILi576ELi512ELi1ELi16ELb1EEvPKcS1_S1_S1_S1_PKiPfP15HIP_vector_typeIfLj2EEffffjfiS5_IjLj3EEiiiiiiiiiiiliiliiiiil.uses_flat_scratch, 0
	.set _ZL15flash_attn_tileILi576ELi512ELi1ELi16ELb1EEvPKcS1_S1_S1_S1_PKiPfP15HIP_vector_typeIfLj2EEffffjfiS5_IjLj3EEiiiiiiiiiiiliiliiiiil.has_dyn_sized_stack, 0
	.set _ZL15flash_attn_tileILi576ELi512ELi1ELi16ELb1EEvPKcS1_S1_S1_S1_PKiPfP15HIP_vector_typeIfLj2EEffffjfiS5_IjLj3EEiiiiiiiiiiiliiliiiiil.has_recursion, 0
	.set _ZL15flash_attn_tileILi576ELi512ELi1ELi16ELb1EEvPKcS1_S1_S1_S1_PKiPfP15HIP_vector_typeIfLj2EEffffjfiS5_IjLj3EEiiiiiiiiiiiliiliiiiil.has_indirect_call, 0
	.section	.AMDGPU.csdata,"",@progbits
; Kernel info:
; codeLenInByte = 30280
; TotalNumSgprs: 48
; NumVgprs: 106
; ScratchSize: 0
; MemoryBound: 0
; FloatMode: 240
; IeeeMode: 1
; LDSByteSize: 29696 bytes/workgroup (compile time only)
; SGPRBlocks: 12
; VGPRBlocks: 26
; NumSGPRsForWavesPerEU: 102
; NumVGPRsForWavesPerEU: 106
; Occupancy: 2
; WaveLimiterHint : 1
; COMPUTE_PGM_RSRC2:SCRATCH_EN: 0
; COMPUTE_PGM_RSRC2:USER_SGPR: 6
; COMPUTE_PGM_RSRC2:TRAP_HANDLER: 0
; COMPUTE_PGM_RSRC2:TGID_X_EN: 1
; COMPUTE_PGM_RSRC2:TGID_Y_EN: 1
; COMPUTE_PGM_RSRC2:TGID_Z_EN: 1
; COMPUTE_PGM_RSRC2:TIDIG_COMP_CNT: 1
	.section	.text._ZL15flash_attn_tileILi576ELi512ELi8ELi4ELb1EEvPKcS1_S1_S1_S1_PKiPfP15HIP_vector_typeIfLj2EEffffjfiS5_IjLj3EEiiiiiiiiiiiliiliiiiil,"axG",@progbits,_ZL15flash_attn_tileILi576ELi512ELi8ELi4ELb1EEvPKcS1_S1_S1_S1_PKiPfP15HIP_vector_typeIfLj2EEffffjfiS5_IjLj3EEiiiiiiiiiiiliiliiiiil,comdat
	.globl	_ZL15flash_attn_tileILi576ELi512ELi8ELi4ELb1EEvPKcS1_S1_S1_S1_PKiPfP15HIP_vector_typeIfLj2EEffffjfiS5_IjLj3EEiiiiiiiiiiiliiliiiiil ; -- Begin function _ZL15flash_attn_tileILi576ELi512ELi8ELi4ELb1EEvPKcS1_S1_S1_S1_PKiPfP15HIP_vector_typeIfLj2EEffffjfiS5_IjLj3EEiiiiiiiiiiiliiliiiiil
	.p2align	8
	.type	_ZL15flash_attn_tileILi576ELi512ELi8ELi4ELb1EEvPKcS1_S1_S1_S1_PKiPfP15HIP_vector_typeIfLj2EEffffjfiS5_IjLj3EEiiiiiiiiiiiliiliiiiil,@function
_ZL15flash_attn_tileILi576ELi512ELi8ELi4ELb1EEvPKcS1_S1_S1_S1_PKiPfP15HIP_vector_typeIfLj2EEffffjfiS5_IjLj3EEiiiiiiiiiiiliiliiiiil: ; @_ZL15flash_attn_tileILi576ELi512ELi8ELi4ELb1EEvPKcS1_S1_S1_S1_PKiPfP15HIP_vector_typeIfLj2EEffffjfiS5_IjLj3EEiiiiiiiiiiiliiliiiiil
; %bb.0:
	s_load_dwordx4 s[0:3], s[4:5], 0x5c
	s_load_dwordx2 s[28:29], s[4:5], 0x80
	s_load_dwordx2 s[34:35], s[4:5], 0xb8
	s_mov_b64 s[30:31], 0
	s_waitcnt lgkmcnt(0)
	s_ashr_i32 s9, s3, 31
	s_lshr_b32 s9, s9, 30
	s_add_i32 s9, s3, s9
	s_ashr_i32 s9, s9, 2
	v_cvt_f32_u32_e32 v2, s9
	s_sub_i32 s10, 0, s9
	v_rcp_iflag_f32_e32 v2, v2
	v_mul_f32_e32 v2, 0x4f7ffffe, v2
	v_cvt_u32_f32_e32 v2, v2
	v_readfirstlane_b32 s11, v2
	s_mul_i32 s10, s10, s11
	s_mul_hi_u32 s10, s11, s10
	s_add_i32 s11, s11, s10
	s_mul_hi_u32 s10, s8, s11
	s_mul_i32 s11, s10, s9
	s_sub_i32 s11, s8, s11
	s_add_i32 s12, s10, 1
	s_sub_i32 s13, s11, s9
	s_cmp_ge_u32 s11, s9
	s_cselect_b32 s10, s12, s10
	s_cselect_b32 s11, s13, s11
	s_add_i32 s12, s10, 1
	s_cmp_ge_u32 s11, s9
	s_cselect_b32 s33, s12, s10
	s_abs_i32 s9, s29
	v_cvt_f32_u32_e32 v2, s9
	s_lshl_b32 s8, s8, 2
	s_mul_i32 s12, s33, s3
	s_xor_b32 s10, s3, s29
	v_rcp_iflag_f32_e32 v2, v2
	s_sub_i32 s13, 0, s9
	s_sub_i32 s29, s8, s12
	s_abs_i32 s11, s3
	v_mul_f32_e32 v2, 0x4f7ffffe, v2
	v_cvt_u32_f32_e32 v2, v2
	s_ashr_i32 s10, s10, 31
	v_readfirstlane_b32 s8, v2
	s_mul_i32 s13, s13, s8
	s_mul_hi_u32 s12, s8, s13
	s_add_i32 s8, s8, s12
	s_mul_hi_u32 s8, s11, s8
	s_mul_i32 s12, s8, s9
	s_sub_i32 s11, s11, s12
	s_add_i32 s13, s8, 1
	s_sub_i32 s12, s11, s9
	s_cmp_ge_u32 s11, s9
	s_cselect_b32 s8, s13, s8
	s_cselect_b32 s11, s12, s11
	s_add_i32 s12, s8, 1
	s_cmp_ge_u32 s11, s9
	s_cselect_b32 s8, s12, s8
	s_xor_b32 s8, s8, s10
	s_sub_i32 s37, s8, s10
	s_abs_i32 s36, s37
	v_cvt_f32_u32_e32 v2, s36
	s_load_dwordx16 s[8:23], s[4:5], 0x0
	v_rcp_iflag_f32_e32 v2, v2
	s_waitcnt lgkmcnt(0)
	s_cmp_eq_u64 s[14:15], 0
	v_mul_f32_e32 v2, 0x4f7ffffe, v2
	v_cvt_u32_f32_e32 v2, v2
	v_readfirstlane_b32 s24, v2
	s_cbranch_scc1 .LBB25_2
; %bb.1:
	s_abs_i32 s25, s34
	v_cvt_f32_u32_e32 v2, s25
	s_sub_i32 s34, 0, s25
	s_abs_i32 s31, s33
	s_ashr_i32 s30, s33, 31
	v_rcp_iflag_f32_e32 v2, v2
	s_load_dwordx2 s[26:27], s[4:5], 0xc8
	v_mul_f32_e32 v2, 0x4f7ffffe, v2
	v_cvt_u32_f32_e32 v2, v2
	v_readfirstlane_b32 s38, v2
	s_mul_i32 s34, s34, s38
	s_mul_hi_u32 s34, s38, s34
	s_add_i32 s38, s38, s34
	s_mul_hi_u32 s34, s31, s38
	s_mul_i32 s34, s34, s25
	s_sub_i32 s31, s31, s34
	s_sub_i32 s34, s31, s25
	s_cmp_ge_u32 s31, s25
	s_cselect_b32 s31, s34, s31
	s_sub_i32 s34, s31, s25
	s_cmp_ge_u32 s31, s25
	s_cselect_b32 s25, s34, s31
	s_xor_b32 s25, s25, s30
	s_sub_i32 s25, s25, s30
	s_ashr_i32 s30, s25, 31
	s_waitcnt lgkmcnt(0)
	s_mul_hi_u32 s31, s26, s25
	s_mul_i32 s30, s26, s30
	s_mul_i32 s27, s27, s25
	s_add_i32 s30, s31, s30
	s_add_i32 s27, s30, s27
	s_mul_i32 s25, s26, s25
	s_add_u32 s30, s14, s25
	s_addc_u32 s31, s15, s27
.LBB25_2:
	v_lshrrev_b32_e32 v2, 1, v1
	s_load_dwordx4 s[40:43], s[4:5], 0x70
	v_lshl_add_u32 v16, s6, 3, v2
	v_mul_hi_u32 v2, s0, v16
	v_lshlrev_b32_e32 v5, 1, v1
	v_and_b32_e32 v17, 2, v5
	s_waitcnt lgkmcnt(0)
	s_mul_i32 s0, s33, s42
	v_add_u32_e32 v2, v16, v2
	s_ashr_i32 s15, s0, 31
	v_lshrrev_b32_e32 v2, s1, v2
	s_mul_i32 s14, s29, s41
	s_add_u32 s0, s8, s0
	v_mul_lo_u32 v2, v2, s2
	s_addc_u32 s8, s9, s15
	s_ashr_i32 s9, s14, 31
	s_add_u32 s14, s0, s14
	s_addc_u32 s15, s8, s9
	s_ashr_i32 s9, s41, 31
	s_mov_b32 s8, s41
	s_ashr_i32 s41, s40, 31
	v_sub_u32_e32 v4, v16, v2
	s_lshr_b64 s[0:1], s[40:41], 2
	v_mad_u64_u32 v[2:3], s[0:1], s0, v4, 0
	s_lshr_b32 s0, s41, 2
	v_lshlrev_b32_e32 v8, 4, v0
	v_mad_u64_u32 v[6:7], s[0:1], s0, v4, v[3:4]
	s_lshr_b64 s[0:1], s[8:9], 2
	s_lshr_b32 s8, s9, 2
	v_mov_b32_e32 v3, v6
	v_lshlrev_b64 v[2:3], 2, v[2:3]
	v_mov_b32_e32 v6, s15
	v_add_co_u32_e32 v7, vcc, s14, v2
	v_addc_co_u32_e32 v6, vcc, v6, v3, vcc
	v_mul_lo_u32 v9, s8, v17
	v_mad_u64_u32 v[2:3], s[8:9], s0, v17, 0
	v_add_co_u32_e32 v7, vcc, v7, v8
	v_or_b32_e32 v3, v3, v9
	v_lshlrev_b64 v[2:3], 2, v[2:3]
	v_addc_co_u32_e32 v8, vcc, 0, v6, vcc
	v_add_co_u32_e32 v2, vcc, v7, v2
	v_addc_co_u32_e32 v3, vcc, v8, v3, vcc
	global_load_dwordx4 v[9:12], v[2:3], off
	global_load_dwordx4 v[20:23], v[2:3], off offset:512
	global_load_dwordx4 v[24:27], v[2:3], off offset:1024
	;; [unrolled: 1-line block ×3, first 2 shown]
	s_load_dword s14, s[4:5], 0x40
	v_lshlrev_b32_e32 v6, 3, v0
	s_movk_i32 s8, 0x900
	v_mul_u32_u24_e32 v19, 0x900, v1
	v_mad_u32_u24 v15, v1, s8, v6
	v_cmp_gt_u32_e32 vcc, 16, v0
	s_waitcnt vmcnt(3) lgkmcnt(0)
	v_fma_mixlo_f16 v9, s14, v9, 0
	v_fma_mixlo_f16 v10, s14, v10, 0
	;; [unrolled: 1-line block ×4, first 2 shown]
	s_waitcnt vmcnt(2)
	v_fma_mixlo_f16 v13, s14, v20, 0
	v_fma_mixlo_f16 v14, s14, v21, 0
	;; [unrolled: 1-line block ×4, first 2 shown]
	s_waitcnt vmcnt(1)
	v_fma_mixlo_f16 v21, s14, v24, 0
	v_fma_mixlo_f16 v22, s14, v25, 0
	;; [unrolled: 1-line block ×3, first 2 shown]
	s_waitcnt vmcnt(0)
	v_fma_mixlo_f16 v25, s14, v28, 0
	v_fma_mixlo_f16 v26, s14, v29, 0
	v_lshlrev_b32_e32 v10, 16, v10
	v_and_b32_e32 v9, 0xffff, v9
	v_lshlrev_b32_e32 v12, 16, v12
	v_and_b32_e32 v11, 0xffff, v11
	;; [unrolled: 2-line block ×3, first 2 shown]
	v_fma_mixlo_f16 v24, s14, v27, 0
	v_fma_mixlo_f16 v27, s14, v30, 0
	;; [unrolled: 1-line block ×3, first 2 shown]
	v_lshlrev_b32_e32 v20, 16, v20
	v_and_b32_e32 v18, 0xffff, v18
	v_lshlrev_b32_e32 v22, 16, v22
	v_and_b32_e32 v21, 0xffff, v21
	;; [unrolled: 2-line block ×3, first 2 shown]
	v_or_b32_e32 v9, v10, v9
	v_or3_b32 v10, v12, v11, 0
	v_or_b32_e32 v11, v14, v13
	v_lshlrev_b32_e32 v24, 16, v24
	v_and_b32_e32 v23, 0xffff, v23
	v_lshlrev_b32_e32 v28, 16, v28
	v_and_b32_e32 v27, 0xffff, v27
	v_or3_b32 v12, v20, v18, 0
	v_or_b32_e32 v13, v22, v21
	v_or_b32_e32 v18, v26, v25
	v_or3_b32 v9, 0, 0, v9
	v_or3_b32 v11, 0, 0, v11
	;; [unrolled: 1-line block ×6, first 2 shown]
	ds_write2_b64 v15, v[9:10], v[11:12] offset1:32
	ds_write2_b64 v15, v[13:14], v[20:21] offset0:64 offset1:96
	s_and_saveexec_b64 s[8:9], vcc
	s_cbranch_execz .LBB25_4
; %bb.3:
	global_load_dwordx4 v[9:12], v[2:3], off offset:2048
	s_waitcnt vmcnt(0)
	v_fma_mixlo_f16 v2, s14, v9, 0
	v_fma_mixlo_f16 v3, s14, v10, 0
	v_fma_mixlo_f16 v9, s14, v11, 0
	v_fma_mixlo_f16 v10, s14, v12, 0
	v_lshlrev_b32_e32 v3, 16, v3
	v_and_b32_e32 v2, 0xffff, v2
	v_lshlrev_b32_e32 v10, 16, v10
	v_and_b32_e32 v9, 0xffff, v9
	v_or_b32_e32 v2, v3, v2
	v_or3_b32 v3, v10, v9, 0
	v_or3_b32 v2, 0, 0, v2
	v_add_u32_e32 v9, v6, v19
	ds_write_b64 v9, v[2:3] offset:1024
.LBB25_4:
	s_or_b64 exec, exec, s[8:9]
	v_or_b32_e32 v5, 1, v5
	v_and_b32_e32 v9, 3, v5
	v_mad_u64_u32 v[2:3], s[8:9], s0, v9, 0
	v_mad_u64_u32 v[9:10], s[0:1], s1, v9, v[3:4]
	v_mov_b32_e32 v3, v9
	v_lshlrev_b64 v[2:3], 2, v[2:3]
	v_add_co_u32_e64 v2, s[0:1], v7, v2
	v_addc_co_u32_e64 v3, s[0:1], v8, v3, s[0:1]
	global_load_dwordx4 v[7:10], v[2:3], off
	global_load_dwordx4 v[11:14], v[2:3], off offset:512
	global_load_dwordx4 v[20:23], v[2:3], off offset:1024
	;; [unrolled: 1-line block ×3, first 2 shown]
	s_movk_i32 s0, 0x480
	v_mad_u32_u24 v15, v5, s0, v6
	s_waitcnt vmcnt(3)
	v_fma_mixlo_f16 v7, s14, v7, 0
	v_fma_mixlo_f16 v8, s14, v8, 0
	v_fma_mixlo_f16 v9, s14, v9, 0
	v_fma_mixlo_f16 v10, s14, v10, 0
	s_waitcnt vmcnt(2)
	v_fma_mixlo_f16 v11, s14, v11, 0
	v_fma_mixlo_f16 v12, s14, v12, 0
	v_fma_mixlo_f16 v13, s14, v13, 0
	v_fma_mixlo_f16 v14, s14, v14, 0
	;; [unrolled: 5-line block ×3, first 2 shown]
	s_waitcnt vmcnt(0)
	v_fma_mixlo_f16 v23, s14, v24, 0
	v_fma_mixlo_f16 v24, s14, v25, 0
	v_lshlrev_b32_e32 v8, 16, v8
	v_and_b32_e32 v7, 0xffff, v7
	v_lshlrev_b32_e32 v10, 16, v10
	v_and_b32_e32 v9, 0xffff, v9
	;; [unrolled: 2-line block ×3, first 2 shown]
	v_fma_mixlo_f16 v25, s14, v26, 0
	v_fma_mixlo_f16 v26, s14, v27, 0
	v_lshlrev_b32_e32 v14, 16, v14
	v_and_b32_e32 v13, 0xffff, v13
	v_lshlrev_b32_e32 v20, 16, v20
	v_and_b32_e32 v18, 0xffff, v18
	;; [unrolled: 2-line block ×3, first 2 shown]
	v_or_b32_e32 v7, v8, v7
	v_or3_b32 v8, v10, v9, 0
	v_or_b32_e32 v9, v12, v11
	v_lshlrev_b32_e32 v22, 16, v22
	v_and_b32_e32 v21, 0xffff, v21
	v_lshlrev_b32_e32 v26, 16, v26
	v_and_b32_e32 v25, 0xffff, v25
	v_or3_b32 v10, v14, v13, 0
	v_or_b32_e32 v11, v20, v18
	v_or_b32_e32 v13, v24, v23
	v_or3_b32 v7, 0, 0, v7
	v_or3_b32 v9, 0, 0, v9
	;; [unrolled: 1-line block ×6, first 2 shown]
	ds_write2_b64 v15, v[7:8], v[9:10] offset1:32
	ds_write2_b64 v15, v[11:12], v[13:14] offset0:64 offset1:96
	s_and_saveexec_b64 s[0:1], vcc
	s_cbranch_execz .LBB25_6
; %bb.5:
	global_load_dwordx4 v[7:10], v[2:3], off offset:2048
	v_mul_u32_u24_e32 v5, 0x480, v5
	v_add_u32_e32 v5, v6, v5
	s_waitcnt vmcnt(0)
	v_fma_mixlo_f16 v2, s14, v7, 0
	v_fma_mixlo_f16 v3, s14, v8, 0
	;; [unrolled: 1-line block ×4, first 2 shown]
	v_lshlrev_b32_e32 v3, 16, v3
	v_and_b32_e32 v2, 0xffff, v2
	v_lshlrev_b32_e32 v8, 16, v8
	v_and_b32_e32 v7, 0xffff, v7
	v_or_b32_e32 v2, v3, v2
	v_or3_b32 v3, v8, v7, 0
	v_or3_b32 v2, 0, 0, v2
	ds_write_b64 v5, v[2:3] offset:1024
.LBB25_6:
	s_or_b64 exec, exec, s[0:1]
	s_cmp_eq_u64 s[18:19], 0
	s_waitcnt lgkmcnt(0)
	s_barrier
	s_cbranch_scc1 .LBB25_8
; %bb.7:
	s_load_dword s0, s[4:5], 0xd0
	s_mov_b32 s1, 0
	s_waitcnt lgkmcnt(0)
	s_mul_i32 s0, s0, s33
	s_add_i32 s0, s0, s6
	s_lshl_b64 s[0:1], s[0:1], 2
	s_add_u32 s0, s18, s0
	s_addc_u32 s1, s19, s1
	s_load_dword s28, s[0:1], 0x0
.LBB25_8:
	s_lshl_b32 s6, s7, 7
	v_lshlrev_b32_e32 v18, 2, v0
	s_waitcnt lgkmcnt(0)
	s_cmp_lt_i32 s6, s28
	v_mbcnt_lo_u32_b32 v2, -1, 0
	s_cbranch_scc1 .LBB25_14
; %bb.9:
	v_mbcnt_hi_u32_b32 v20, -1, v2
	v_and_b32_e32 v3, 0x60, v20
	v_add_u32_e32 v53, 32, v3
	v_xor_b32_e32 v58, 16, v20
	v_xor_b32_e32 v54, 8, v20
	;; [unrolled: 1-line block ×5, first 2 shown]
	s_cbranch_execz .LBB25_15
; %bb.10:
	v_mov_b32_e32 v39, 0
	v_mov_b32_e32 v52, 0
	;; [unrolled: 1-line block ×20, first 2 shown]
.LBB25_11:
	v_cmp_lt_i32_e32 vcc, v58, v53
	v_cndmask_b32_e32 v1, v20, v58, vcc
	v_lshlrev_b32_e32 v1, 2, v1
	ds_bpermute_b32 v2, v1, v51
	ds_bpermute_b32 v1, v1, v52
	v_cmp_lt_i32_e32 vcc, v54, v53
	v_cndmask_b32_e32 v3, v20, v54, vcc
	v_lshlrev_b32_e32 v3, 2, v3
	s_waitcnt lgkmcnt(1)
	v_add_f32_e32 v2, v51, v2
	s_waitcnt lgkmcnt(0)
	v_add_f32_e32 v1, v52, v1
	ds_bpermute_b32 v4, v3, v2
	ds_bpermute_b32 v3, v3, v1
	v_cmp_lt_i32_e32 vcc, v55, v53
	v_cndmask_b32_e32 v9, v20, v55, vcc
	v_lshlrev_b32_e32 v9, 2, v9
	s_waitcnt lgkmcnt(1)
	v_add_f32_e32 v2, v2, v4
	s_waitcnt lgkmcnt(0)
	v_add_f32_e32 v1, v1, v3
	;; [unrolled: 9-line block ×4, first 2 shown]
	ds_bpermute_b32 v4, v9, v2
	ds_bpermute_b32 v9, v9, v3
	s_cmp_lg_u64 s[16:17], 0
	s_cselect_b64 s[0:1], -1, 0
	s_cmp_eq_u32 s7, 0
	s_cselect_b64 s[8:9], -1, 0
	s_and_b64 s[0:1], s[8:9], s[0:1]
	s_waitcnt lgkmcnt(1)
	v_add_f32_e32 v1, v2, v4
	s_waitcnt lgkmcnt(0)
	v_add_f32_e32 v2, v3, v9
	s_and_b64 vcc, exec, s[0:1]
	s_cbranch_vccz .LBB25_50
; %bb.12:
	v_add_u32_e32 v3, s29, v17
	v_ashrrev_i32_e32 v4, 31, v3
	v_lshlrev_b64 v[3:4], 2, v[3:4]
	v_mov_b32_e32 v9, s17
	v_add_co_u32_e32 v3, vcc, s16, v3
	v_addc_co_u32_e32 v4, vcc, v9, v4, vcc
	global_load_dwordx2 v[3:4], v[3:4], off
	v_max_f32_e32 v9, v14, v14
	v_max_f32_e32 v10, v15, v15
	s_mov_b32 s0, 0x3fb8aa3b
	s_mov_b32 s1, 0xc2ce8ed0
	;; [unrolled: 1-line block ×3, first 2 shown]
	v_mov_b32_e32 v11, 0x7f800000
	s_waitcnt vmcnt(0)
	v_max_f32_e32 v12, v3, v3
	v_max_f32_e32 v13, v4, v4
	;; [unrolled: 1-line block ×4, first 2 shown]
	v_sub_f32_e32 v12, v14, v9
	v_sub_f32_e32 v13, v15, v10
	v_mov_b32_e32 v15, v10
	v_sub_f32_e32 v3, v3, v9
	v_mov_b32_e32 v14, v9
	v_mul_f32_e32 v9, 0x3fb8aa3b, v12
	v_sub_f32_e32 v4, v4, v10
	v_mul_f32_e32 v10, 0x3fb8aa3b, v3
	v_fma_f32 v21, v12, s0, -v9
	v_rndne_f32_e32 v22, v9
	v_mul_f32_e32 v19, 0x3fb8aa3b, v13
	v_fma_f32 v23, v3, s0, -v10
	v_rndne_f32_e32 v24, v10
	v_fmac_f32_e32 v21, 0x32a5705f, v12
	v_sub_f32_e32 v9, v9, v22
	v_mul_f32_e32 v20, 0x3fb8aa3b, v4
	v_fma_f32 v25, v13, s0, -v19
	v_rndne_f32_e32 v26, v19
	v_fmac_f32_e32 v23, 0x32a5705f, v3
	v_sub_f32_e32 v10, v10, v24
	v_add_f32_e32 v9, v9, v21
	v_fma_f32 v27, v4, s0, -v20
	v_rndne_f32_e32 v28, v20
	v_cvt_i32_f32_e32 v22, v22
	v_fmac_f32_e32 v25, 0x32a5705f, v13
	v_sub_f32_e32 v19, v19, v26
	v_add_f32_e32 v10, v10, v23
	v_exp_f32_e32 v9, v9
	v_cvt_i32_f32_e32 v24, v24
	v_fmac_f32_e32 v27, 0x32a5705f, v4
	v_sub_f32_e32 v20, v20, v28
	v_add_f32_e32 v19, v19, v25
	v_exp_f32_e32 v10, v10
	v_cvt_i32_f32_e32 v26, v26
	v_add_f32_e32 v20, v20, v27
	v_exp_f32_e32 v19, v19
	v_cvt_i32_f32_e32 v28, v28
	v_exp_f32_e32 v20, v20
	v_ldexp_f32 v9, v9, v22
	v_cmp_ngt_f32_e32 vcc, s1, v12
	v_ldexp_f32 v10, v10, v24
	v_cndmask_b32_e32 v9, 0, v9, vcc
	v_cmp_ngt_f32_e32 vcc, s1, v3
	v_ldexp_f32 v19, v19, v26
	v_cndmask_b32_e32 v10, 0, v10, vcc
	;; [unrolled: 3-line block ×3, first 2 shown]
	v_cmp_ngt_f32_e32 vcc, s1, v4
	v_cndmask_b32_e32 v20, 0, v20, vcc
	v_cmp_nlt_f32_e32 vcc, s6, v12
	v_cndmask_b32_e32 v9, v11, v9, vcc
	v_cmp_nlt_f32_e32 vcc, s6, v3
	;; [unrolled: 2-line block ×4, first 2 shown]
	v_cndmask_b32_e32 v4, v11, v20, vcc
	v_fmac_f32_e32 v3, v1, v9
	v_cvt_f16_f32_e32 v9, v9
	v_cvt_f16_f32_e32 v11, v10
	v_fmac_f32_e32 v4, v2, v10
	v_mov_b32_e32 v1, v3
	v_mul_u32_u24_e32 v2, 0x10001, v9
	v_mul_u32_u24_e32 v9, 0x10001, v11
	v_pk_mul_f16 v39, v39, v2
	v_pk_mul_f16 v46, v46, v2
	;; [unrolled: 1-line block ×16, first 2 shown]
	v_mov_b32_e32 v2, v4
	v_cmp_gt_i32_e32 vcc, s2, v16
	s_and_saveexec_b64 s[0:1], vcc
	s_cbranch_execnz .LBB25_51
.LBB25_13:
	s_endpgm
.LBB25_14:
                                        ; implicit-def: $vgpr20
                                        ; implicit-def: $vgpr53
                                        ; implicit-def: $vgpr58
                                        ; implicit-def: $vgpr54
                                        ; implicit-def: $vgpr55
                                        ; implicit-def: $vgpr56
                                        ; implicit-def: $vgpr57
.LBB25_15:
	s_sub_i32 s0, 0, s36
	s_mul_i32 s0, s0, s24
	s_mul_hi_u32 s0, s24, s0
	s_abs_i32 s19, s29
	s_add_i32 s24, s24, s0
	s_mul_hi_u32 s34, s19, s24
	s_load_dwordx4 s[24:27], s[4:5], 0x98
	s_load_dword s14, s[4:5], 0x54
	s_load_dwordx2 s[0:1], s[4:5], 0x8c
	s_ashr_i32 s38, s29, 31
	s_ashr_i32 s37, s37, 31
	s_waitcnt lgkmcnt(0)
	s_ashr_i32 s15, s26, 2
	s_ashr_i32 s26, s35, 1
	;; [unrolled: 1-line block ×4, first 2 shown]
	s_mul_hi_u32 s35, s24, s33
	s_mul_i32 s39, s24, s0
	s_add_i32 s35, s35, s39
	s_mul_i32 s25, s25, s33
	s_add_i32 s35, s35, s25
	s_mul_i32 s24, s24, s33
	s_add_u32 s10, s10, s24
	s_mul_i32 s25, s34, s36
	s_addc_u32 s11, s11, s35
	s_sub_i32 s19, s19, s25
	s_xor_b32 s24, s38, s37
	s_add_i32 s25, s34, 1
	s_sub_i32 s35, s19, s36
	s_cmp_ge_u32 s19, s36
	s_cselect_b32 s25, s25, s34
	s_cselect_b32 s19, s35, s19
	s_add_i32 s34, s25, 1
	s_cmp_ge_u32 s19, s36
	s_load_dwordx2 s[8:9], s[4:5], 0xa8
	s_cselect_b32 s19, s34, s25
	s_xor_b32 s19, s19, s24
	s_sub_i32 s19, s19, s24
	s_mul_i32 s1, s19, s1
	s_ashr_i32 s24, s1, 31
	s_add_u32 s10, s10, s1
	s_waitcnt lgkmcnt(0)
	s_mul_hi_u32 s1, s8, s33
	s_mul_i32 s0, s8, s0
	s_addc_u32 s11, s11, s24
	s_add_i32 s0, s1, s0
	s_mul_i32 s1, s9, s33
	s_add_i32 s0, s0, s1
	s_mul_i32 s1, s8, s33
	s_add_u32 s1, s12, s1
	s_mul_i32 s19, s19, s27
	s_addc_u32 s0, s13, s0
	s_ashr_i32 s8, s19, 31
	s_add_u32 s9, s1, s19
	v_lshrrev_b32_e32 v3, 3, v0
	v_and_b32_e32 v14, 28, v18
	s_addc_u32 s8, s0, s8
	v_lshl_add_u32 v3, v1, 2, v3
	v_lshlrev_b32_e32 v8, 2, v14
	s_movk_i32 s0, 0x90
	v_mul_lo_u32 v7, s18, v3
	v_mad_u32_u24 v3, v3, s0, v8
	v_add_u32_e32 v21, 0x9000, v3
	v_add_u32_e32 v22, 0xb400, v3
	v_mov_b32_e32 v3, 0x9000
	v_mad_u32_u24 v23, v0, s0, v3
	v_mov_b32_e32 v3, 0xd800
	v_lshl_add_u32 v24, v1, 9, v3
	v_mul_lo_u32 v3, s15, v1
	v_mad_u64_u32 v[9:10], s[0:1], v4, s26, v[0:1]
	v_lshl_add_u32 v12, s18, 6, v7
	v_ashrrev_i32_e32 v4, 31, v3
	v_lshlrev_b64 v[3:4], 2, v[3:4]
	v_mov_b32_e32 v11, s8
	v_add_co_u32_e32 v3, vcc, s9, v3
	v_ashrrev_i32_e32 v8, 31, v7
	v_ashrrev_i32_e32 v13, 31, v12
	v_lshlrev_b32_e32 v10, 2, v18
	v_addc_co_u32_e32 v4, vcc, v11, v4, vcc
	v_lshl_add_u32 v1, v1, 10, v10
	s_add_u32 s0, s4, 0xd0
	v_add_co_u32_e32 v28, vcc, v3, v10
	v_lshlrev_b64 v[10:11], 2, v[7:8]
	v_lshlrev_b64 v[12:13], 2, v[12:13]
	v_mov_b32_e32 v5, 0
	v_add_u32_e32 v25, 0x9000, v1
	v_add_u32_e32 v26, 0x9200, v1
	v_or_b32_e32 v27, 0x9000, v6
	s_addc_u32 s1, s5, 0
	v_addc_co_u32_e32 v29, vcc, 0, v4, vcc
	v_mov_b32_e32 v50, 0xfeffffff
	v_lshlrev_b32_e32 v30, 2, v14
	s_mov_b32 s12, 0x3f200000
	s_mov_b32 s13, 0x3fb8aa3b
	;; [unrolled: 1-line block ×4, first 2 shown]
	v_mov_b32_e32 v31, 0xbd5c1c4e
	v_mov_b32_e32 v32, 0x3e088382
	;; [unrolled: 1-line block ×3, first 2 shown]
	s_brev_b32 s25, -2
	s_mov_b32 s26, 0x10001
	v_mov_b32_e32 v34, 0x7f800000
	v_mbcnt_hi_u32_b32 v20, -1, v2
	v_mov_b32_e32 v6, 0
	v_mov_b32_e32 v8, 0
	;; [unrolled: 1-line block ×18, first 2 shown]
.LBB25_16:                              ; =>This Inner Loop Header: Depth=1
	s_mul_hi_i32 s9, s6, s18
	s_mul_i32 s8, s6, s18
	s_lshl_b64 s[8:9], s[8:9], 2
	s_add_u32 s8, s10, s8
	s_addc_u32 s9, s11, s9
	v_mov_b32_e32 v1, s9
	v_add_co_u32_e32 v2, vcc, s8, v10
	v_addc_co_u32_e32 v3, vcc, v1, v11, vcc
	v_add_co_u32_e32 v1, vcc, v2, v30
	v_addc_co_u32_e32 v2, vcc, 0, v3, vcc
	v_mov_b32_e32 v3, s9
	v_add_co_u32_e32 v4, vcc, s8, v12
	v_addc_co_u32_e32 v14, vcc, v3, v13, vcc
	v_add_co_u32_e32 v3, vcc, v4, v30
	v_addc_co_u32_e32 v4, vcc, 0, v14, vcc
	global_load_dwordx4 v[57:60], v[1:2], off
	global_load_dwordx4 v[61:64], v[3:4], off
	v_mov_b32_e32 v53, 0
	v_mov_b32_e32 v14, 0
	;; [unrolled: 1-line block ×8, first 2 shown]
	s_waitcnt vmcnt(1)
	ds_write_b128 v21, v[57:60]
	s_waitcnt vmcnt(0)
	ds_write_b128 v22, v[61:64]
	s_waitcnt lgkmcnt(0)
	s_barrier
	ds_read_b128 v[57:60], v19
	ds_read_b128 v[61:64], v23
	ds_read_b128 v[65:68], v23 offset:4608
	ds_read_b128 v[69:72], v23 offset:9216
	;; [unrolled: 1-line block ×4, first 2 shown]
	s_waitcnt lgkmcnt(4)
	;;#ASMSTART
	v_dot2_f32_f16 v53, v61, v57, v53
	;;#ASMEND
	;;#ASMSTART
	v_dot2_f32_f16 v53, v62, v58, v53
	;;#ASMEND
	;; [unrolled: 3-line block ×4, first 2 shown]
	s_waitcnt lgkmcnt(0)
	;;#ASMSTART
	v_dot2_f32_f16 v14, v61, v77, v14
	;;#ASMEND
	;;#ASMSTART
	v_dot2_f32_f16 v14, v62, v78, v14
	;;#ASMEND
	;; [unrolled: 3-line block ×28, first 2 shown]
	ds_read_b128 v[57:60], v19 offset:16
	ds_read_b128 v[61:64], v23 offset:16
	;; [unrolled: 1-line block ×6, first 2 shown]
	s_waitcnt lgkmcnt(4)
	;;#ASMSTART
	v_dot2_f32_f16 v53, v61, v57, v53
	;;#ASMEND
	;;#ASMSTART
	v_dot2_f32_f16 v53, v62, v58, v53
	;;#ASMEND
	;; [unrolled: 3-line block ×4, first 2 shown]
	s_waitcnt lgkmcnt(0)
	;;#ASMSTART
	v_dot2_f32_f16 v14, v61, v77, v14
	;;#ASMEND
	;;#ASMSTART
	v_dot2_f32_f16 v14, v62, v78, v14
	;;#ASMEND
	;; [unrolled: 3-line block ×28, first 2 shown]
	ds_read_b128 v[57:60], v19 offset:32
	ds_read_b128 v[61:64], v23 offset:32
	;; [unrolled: 1-line block ×6, first 2 shown]
	s_waitcnt lgkmcnt(4)
	;;#ASMSTART
	v_dot2_f32_f16 v53, v61, v57, v53
	;;#ASMEND
	;;#ASMSTART
	v_dot2_f32_f16 v53, v62, v58, v53
	;;#ASMEND
	;;#ASMSTART
	v_dot2_f32_f16 v53, v63, v59, v53
	;;#ASMEND
	;;#ASMSTART
	v_dot2_f32_f16 v53, v64, v60, v53
	;;#ASMEND
	s_waitcnt lgkmcnt(0)
	;;#ASMSTART
	v_dot2_f32_f16 v14, v61, v77, v14
	;;#ASMEND
	;;#ASMSTART
	v_dot2_f32_f16 v14, v62, v78, v14
	;;#ASMEND
	;; [unrolled: 3-line block ×28, first 2 shown]
	ds_read_b128 v[57:60], v19 offset:48
	ds_read_b128 v[61:64], v23 offset:48
	;; [unrolled: 1-line block ×6, first 2 shown]
	s_waitcnt lgkmcnt(4)
	;;#ASMSTART
	v_dot2_f32_f16 v53, v61, v57, v53
	;;#ASMEND
	;;#ASMSTART
	v_dot2_f32_f16 v53, v62, v58, v53
	;;#ASMEND
	;; [unrolled: 3-line block ×4, first 2 shown]
	s_waitcnt lgkmcnt(0)
	;;#ASMSTART
	v_dot2_f32_f16 v14, v61, v77, v14
	;;#ASMEND
	;;#ASMSTART
	v_dot2_f32_f16 v14, v62, v78, v14
	;;#ASMEND
	;; [unrolled: 3-line block ×28, first 2 shown]
	ds_read_b128 v[57:60], v19 offset:64
	ds_read_b128 v[61:64], v23 offset:64
	;; [unrolled: 1-line block ×6, first 2 shown]
	s_waitcnt lgkmcnt(4)
	;;#ASMSTART
	v_dot2_f32_f16 v53, v61, v57, v53
	;;#ASMEND
	;;#ASMSTART
	v_dot2_f32_f16 v53, v62, v58, v53
	;;#ASMEND
	;; [unrolled: 3-line block ×4, first 2 shown]
	s_waitcnt lgkmcnt(0)
	;;#ASMSTART
	v_dot2_f32_f16 v14, v61, v77, v14
	;;#ASMEND
	;;#ASMSTART
	v_dot2_f32_f16 v14, v62, v78, v14
	;;#ASMEND
	;; [unrolled: 3-line block ×28, first 2 shown]
	ds_read_b128 v[57:60], v19 offset:80
	ds_read_b128 v[61:64], v23 offset:80
	;; [unrolled: 1-line block ×6, first 2 shown]
	s_waitcnt lgkmcnt(4)
	;;#ASMSTART
	v_dot2_f32_f16 v53, v61, v57, v53
	;;#ASMEND
	;;#ASMSTART
	v_dot2_f32_f16 v53, v62, v58, v53
	;;#ASMEND
	;; [unrolled: 3-line block ×4, first 2 shown]
	s_waitcnt lgkmcnt(0)
	;;#ASMSTART
	v_dot2_f32_f16 v14, v61, v77, v14
	;;#ASMEND
	;;#ASMSTART
	v_dot2_f32_f16 v14, v62, v78, v14
	;;#ASMEND
	;; [unrolled: 3-line block ×28, first 2 shown]
	ds_read_b128 v[57:60], v19 offset:96
	ds_read_b128 v[61:64], v23 offset:96
	ds_read_b128 v[65:68], v23 offset:4704
	ds_read_b128 v[69:72], v23 offset:9312
	ds_read_b128 v[73:76], v23 offset:13920
	ds_read_b128 v[77:80], v19 offset:1248
	s_waitcnt lgkmcnt(4)
	;;#ASMSTART
	v_dot2_f32_f16 v53, v61, v57, v53
	;;#ASMEND
	;;#ASMSTART
	v_dot2_f32_f16 v53, v62, v58, v53
	;;#ASMEND
	;;#ASMSTART
	v_dot2_f32_f16 v53, v63, v59, v53
	;;#ASMEND
	;;#ASMSTART
	v_dot2_f32_f16 v53, v64, v60, v53
	;;#ASMEND
	s_waitcnt lgkmcnt(0)
	;;#ASMSTART
	v_dot2_f32_f16 v14, v61, v77, v14
	;;#ASMEND
	;;#ASMSTART
	v_dot2_f32_f16 v14, v62, v78, v14
	;;#ASMEND
	;; [unrolled: 3-line block ×28, first 2 shown]
	ds_read_b128 v[57:60], v19 offset:112
	ds_read_b128 v[61:64], v23 offset:112
	;; [unrolled: 1-line block ×6, first 2 shown]
	s_waitcnt lgkmcnt(4)
	;;#ASMSTART
	v_dot2_f32_f16 v53, v61, v57, v53
	;;#ASMEND
	;;#ASMSTART
	v_dot2_f32_f16 v53, v62, v58, v53
	;;#ASMEND
	;; [unrolled: 3-line block ×4, first 2 shown]
	s_waitcnt lgkmcnt(0)
	;;#ASMSTART
	v_dot2_f32_f16 v14, v61, v77, v14
	;;#ASMEND
	;;#ASMSTART
	v_dot2_f32_f16 v14, v62, v78, v14
	;;#ASMEND
	;; [unrolled: 3-line block ×28, first 2 shown]
	s_barrier
	global_load_dwordx4 v[57:60], v[1:2], off offset:128
	global_load_dwordx4 v[61:64], v[3:4], off offset:128
	s_waitcnt vmcnt(1)
	ds_write_b128 v21, v[57:60]
	s_waitcnt vmcnt(0)
	ds_write_b128 v22, v[61:64]
	s_waitcnt lgkmcnt(0)
	s_barrier
	ds_read_b128 v[57:60], v19 offset:128
	ds_read_b128 v[61:64], v23
	ds_read_b128 v[65:68], v23 offset:4608
	ds_read_b128 v[69:72], v23 offset:9216
	;; [unrolled: 1-line block ×4, first 2 shown]
	s_waitcnt lgkmcnt(4)
	;;#ASMSTART
	v_dot2_f32_f16 v53, v61, v57, v53
	;;#ASMEND
	;;#ASMSTART
	v_dot2_f32_f16 v53, v62, v58, v53
	;;#ASMEND
	;; [unrolled: 3-line block ×4, first 2 shown]
	s_waitcnt lgkmcnt(0)
	;;#ASMSTART
	v_dot2_f32_f16 v14, v61, v77, v14
	;;#ASMEND
	;;#ASMSTART
	v_dot2_f32_f16 v14, v62, v78, v14
	;;#ASMEND
	;; [unrolled: 3-line block ×28, first 2 shown]
	ds_read_b128 v[57:60], v19 offset:144
	ds_read_b128 v[61:64], v23 offset:16
	;; [unrolled: 1-line block ×6, first 2 shown]
	s_waitcnt lgkmcnt(4)
	;;#ASMSTART
	v_dot2_f32_f16 v53, v61, v57, v53
	;;#ASMEND
	;;#ASMSTART
	v_dot2_f32_f16 v53, v62, v58, v53
	;;#ASMEND
	;; [unrolled: 3-line block ×4, first 2 shown]
	s_waitcnt lgkmcnt(0)
	;;#ASMSTART
	v_dot2_f32_f16 v14, v61, v77, v14
	;;#ASMEND
	;;#ASMSTART
	v_dot2_f32_f16 v14, v62, v78, v14
	;;#ASMEND
	;; [unrolled: 3-line block ×28, first 2 shown]
	ds_read_b128 v[57:60], v19 offset:160
	ds_read_b128 v[61:64], v23 offset:32
	;; [unrolled: 1-line block ×6, first 2 shown]
	s_waitcnt lgkmcnt(4)
	;;#ASMSTART
	v_dot2_f32_f16 v53, v61, v57, v53
	;;#ASMEND
	;;#ASMSTART
	v_dot2_f32_f16 v53, v62, v58, v53
	;;#ASMEND
	;; [unrolled: 3-line block ×4, first 2 shown]
	s_waitcnt lgkmcnt(0)
	;;#ASMSTART
	v_dot2_f32_f16 v14, v61, v77, v14
	;;#ASMEND
	;;#ASMSTART
	v_dot2_f32_f16 v14, v62, v78, v14
	;;#ASMEND
	;; [unrolled: 3-line block ×28, first 2 shown]
	ds_read_b128 v[57:60], v19 offset:176
	ds_read_b128 v[61:64], v23 offset:48
	;; [unrolled: 1-line block ×6, first 2 shown]
	s_waitcnt lgkmcnt(4)
	;;#ASMSTART
	v_dot2_f32_f16 v53, v61, v57, v53
	;;#ASMEND
	;;#ASMSTART
	v_dot2_f32_f16 v53, v62, v58, v53
	;;#ASMEND
	;; [unrolled: 3-line block ×4, first 2 shown]
	s_waitcnt lgkmcnt(0)
	;;#ASMSTART
	v_dot2_f32_f16 v14, v61, v77, v14
	;;#ASMEND
	;;#ASMSTART
	v_dot2_f32_f16 v14, v62, v78, v14
	;;#ASMEND
	;; [unrolled: 3-line block ×28, first 2 shown]
	ds_read_b128 v[57:60], v19 offset:192
	ds_read_b128 v[61:64], v23 offset:64
	;; [unrolled: 1-line block ×6, first 2 shown]
	s_waitcnt lgkmcnt(4)
	;;#ASMSTART
	v_dot2_f32_f16 v53, v61, v57, v53
	;;#ASMEND
	;;#ASMSTART
	v_dot2_f32_f16 v53, v62, v58, v53
	;;#ASMEND
	;; [unrolled: 3-line block ×4, first 2 shown]
	s_waitcnt lgkmcnt(0)
	;;#ASMSTART
	v_dot2_f32_f16 v14, v61, v77, v14
	;;#ASMEND
	;;#ASMSTART
	v_dot2_f32_f16 v14, v62, v78, v14
	;;#ASMEND
	;; [unrolled: 3-line block ×28, first 2 shown]
	ds_read_b128 v[57:60], v19 offset:208
	ds_read_b128 v[61:64], v23 offset:80
	;; [unrolled: 1-line block ×6, first 2 shown]
	s_waitcnt lgkmcnt(4)
	;;#ASMSTART
	v_dot2_f32_f16 v53, v61, v57, v53
	;;#ASMEND
	;;#ASMSTART
	v_dot2_f32_f16 v53, v62, v58, v53
	;;#ASMEND
	;; [unrolled: 3-line block ×4, first 2 shown]
	s_waitcnt lgkmcnt(0)
	;;#ASMSTART
	v_dot2_f32_f16 v14, v61, v77, v14
	;;#ASMEND
	;;#ASMSTART
	v_dot2_f32_f16 v14, v62, v78, v14
	;;#ASMEND
	;; [unrolled: 3-line block ×28, first 2 shown]
	ds_read_b128 v[57:60], v19 offset:224
	ds_read_b128 v[61:64], v23 offset:96
	;; [unrolled: 1-line block ×6, first 2 shown]
	s_waitcnt lgkmcnt(4)
	;;#ASMSTART
	v_dot2_f32_f16 v53, v61, v57, v53
	;;#ASMEND
	;;#ASMSTART
	v_dot2_f32_f16 v53, v62, v58, v53
	;;#ASMEND
	;; [unrolled: 3-line block ×4, first 2 shown]
	s_waitcnt lgkmcnt(0)
	;;#ASMSTART
	v_dot2_f32_f16 v14, v61, v77, v14
	;;#ASMEND
	;;#ASMSTART
	v_dot2_f32_f16 v14, v62, v78, v14
	;;#ASMEND
	;; [unrolled: 3-line block ×28, first 2 shown]
	ds_read_b128 v[57:60], v19 offset:240
	ds_read_b128 v[61:64], v23 offset:112
	;; [unrolled: 1-line block ×6, first 2 shown]
	s_waitcnt lgkmcnt(4)
	;;#ASMSTART
	v_dot2_f32_f16 v53, v61, v57, v53
	;;#ASMEND
	;;#ASMSTART
	v_dot2_f32_f16 v53, v62, v58, v53
	;;#ASMEND
	;; [unrolled: 3-line block ×4, first 2 shown]
	s_waitcnt lgkmcnt(0)
	;;#ASMSTART
	v_dot2_f32_f16 v14, v61, v77, v14
	;;#ASMEND
	;;#ASMSTART
	v_dot2_f32_f16 v14, v62, v78, v14
	;;#ASMEND
	;; [unrolled: 3-line block ×28, first 2 shown]
	s_barrier
	global_load_dwordx4 v[57:60], v[1:2], off offset:256
	global_load_dwordx4 v[61:64], v[3:4], off offset:256
	s_waitcnt vmcnt(1)
	ds_write_b128 v21, v[57:60]
	s_waitcnt vmcnt(0)
	ds_write_b128 v22, v[61:64]
	s_waitcnt lgkmcnt(0)
	s_barrier
	ds_read_b128 v[57:60], v19 offset:256
	ds_read_b128 v[61:64], v23
	ds_read_b128 v[65:68], v23 offset:4608
	ds_read_b128 v[69:72], v23 offset:9216
	;; [unrolled: 1-line block ×4, first 2 shown]
	s_waitcnt lgkmcnt(4)
	;;#ASMSTART
	v_dot2_f32_f16 v53, v61, v57, v53
	;;#ASMEND
	;;#ASMSTART
	v_dot2_f32_f16 v53, v62, v58, v53
	;;#ASMEND
	;; [unrolled: 3-line block ×4, first 2 shown]
	s_waitcnt lgkmcnt(0)
	;;#ASMSTART
	v_dot2_f32_f16 v14, v61, v77, v14
	;;#ASMEND
	;;#ASMSTART
	v_dot2_f32_f16 v14, v62, v78, v14
	;;#ASMEND
	;; [unrolled: 3-line block ×28, first 2 shown]
	ds_read_b128 v[57:60], v19 offset:272
	ds_read_b128 v[61:64], v23 offset:16
	;; [unrolled: 1-line block ×6, first 2 shown]
	s_waitcnt lgkmcnt(4)
	;;#ASMSTART
	v_dot2_f32_f16 v53, v61, v57, v53
	;;#ASMEND
	;;#ASMSTART
	v_dot2_f32_f16 v53, v62, v58, v53
	;;#ASMEND
	;; [unrolled: 3-line block ×4, first 2 shown]
	s_waitcnt lgkmcnt(0)
	;;#ASMSTART
	v_dot2_f32_f16 v14, v61, v77, v14
	;;#ASMEND
	;;#ASMSTART
	v_dot2_f32_f16 v14, v62, v78, v14
	;;#ASMEND
	;;#ASMSTART
	v_dot2_f32_f16 v14, v63, v79, v14
	;;#ASMEND
	;;#ASMSTART
	v_dot2_f32_f16 v14, v64, v80, v14
	;;#ASMEND
	;;#ASMSTART
	v_dot2_f32_f16 v54, v65, v57, v54
	;;#ASMEND
	;;#ASMSTART
	v_dot2_f32_f16 v54, v66, v58, v54
	;;#ASMEND
	;;#ASMSTART
	v_dot2_f32_f16 v54, v67, v59, v54
	;;#ASMEND
	;;#ASMSTART
	v_dot2_f32_f16 v54, v68, v60, v54
	;;#ASMEND
	;;#ASMSTART
	v_dot2_f32_f16 v15, v65, v77, v15
	;;#ASMEND
	;;#ASMSTART
	v_dot2_f32_f16 v15, v66, v78, v15
	;;#ASMEND
	;;#ASMSTART
	v_dot2_f32_f16 v15, v67, v79, v15
	;;#ASMEND
	;;#ASMSTART
	v_dot2_f32_f16 v15, v68, v80, v15
	;;#ASMEND
	;;#ASMSTART
	v_dot2_f32_f16 v55, v69, v57, v55
	;;#ASMEND
	;;#ASMSTART
	v_dot2_f32_f16 v55, v70, v58, v55
	;;#ASMEND
	;;#ASMSTART
	v_dot2_f32_f16 v55, v71, v59, v55
	;;#ASMEND
	;;#ASMSTART
	v_dot2_f32_f16 v55, v72, v60, v55
	;;#ASMEND
	;;#ASMSTART
	v_dot2_f32_f16 v51, v69, v77, v51
	;;#ASMEND
	;;#ASMSTART
	v_dot2_f32_f16 v51, v70, v78, v51
	;;#ASMEND
	;;#ASMSTART
	v_dot2_f32_f16 v51, v71, v79, v51
	;;#ASMEND
	;;#ASMSTART
	v_dot2_f32_f16 v51, v72, v80, v51
	;;#ASMEND
	;;#ASMSTART
	v_dot2_f32_f16 v56, v73, v57, v56
	;;#ASMEND
	;;#ASMSTART
	v_dot2_f32_f16 v56, v74, v58, v56
	;;#ASMEND
	;;#ASMSTART
	v_dot2_f32_f16 v56, v75, v59, v56
	;;#ASMEND
	;;#ASMSTART
	v_dot2_f32_f16 v56, v76, v60, v56
	;;#ASMEND
	;;#ASMSTART
	v_dot2_f32_f16 v52, v73, v77, v52
	;;#ASMEND
	;;#ASMSTART
	v_dot2_f32_f16 v52, v74, v78, v52
	;;#ASMEND
	;;#ASMSTART
	v_dot2_f32_f16 v52, v75, v79, v52
	;;#ASMEND
	;;#ASMSTART
	v_dot2_f32_f16 v52, v76, v80, v52
	;;#ASMEND
	ds_read_b128 v[57:60], v19 offset:288
	ds_read_b128 v[61:64], v23 offset:32
	;; [unrolled: 1-line block ×6, first 2 shown]
	s_waitcnt lgkmcnt(4)
	;;#ASMSTART
	v_dot2_f32_f16 v53, v61, v57, v53
	;;#ASMEND
	;;#ASMSTART
	v_dot2_f32_f16 v53, v62, v58, v53
	;;#ASMEND
	;; [unrolled: 3-line block ×4, first 2 shown]
	s_waitcnt lgkmcnt(0)
	;;#ASMSTART
	v_dot2_f32_f16 v14, v61, v77, v14
	;;#ASMEND
	;;#ASMSTART
	v_dot2_f32_f16 v14, v62, v78, v14
	;;#ASMEND
	;; [unrolled: 3-line block ×28, first 2 shown]
	ds_read_b128 v[57:60], v19 offset:304
	ds_read_b128 v[61:64], v23 offset:48
	;; [unrolled: 1-line block ×6, first 2 shown]
	s_waitcnt lgkmcnt(4)
	;;#ASMSTART
	v_dot2_f32_f16 v53, v61, v57, v53
	;;#ASMEND
	;;#ASMSTART
	v_dot2_f32_f16 v53, v62, v58, v53
	;;#ASMEND
	;; [unrolled: 3-line block ×4, first 2 shown]
	s_waitcnt lgkmcnt(0)
	;;#ASMSTART
	v_dot2_f32_f16 v14, v61, v77, v14
	;;#ASMEND
	;;#ASMSTART
	v_dot2_f32_f16 v14, v62, v78, v14
	;;#ASMEND
	;; [unrolled: 3-line block ×28, first 2 shown]
	ds_read_b128 v[57:60], v19 offset:320
	ds_read_b128 v[61:64], v23 offset:64
	;; [unrolled: 1-line block ×6, first 2 shown]
	s_waitcnt lgkmcnt(4)
	;;#ASMSTART
	v_dot2_f32_f16 v53, v61, v57, v53
	;;#ASMEND
	;;#ASMSTART
	v_dot2_f32_f16 v53, v62, v58, v53
	;;#ASMEND
	;; [unrolled: 3-line block ×4, first 2 shown]
	s_waitcnt lgkmcnt(0)
	;;#ASMSTART
	v_dot2_f32_f16 v14, v61, v77, v14
	;;#ASMEND
	;;#ASMSTART
	v_dot2_f32_f16 v14, v62, v78, v14
	;;#ASMEND
	;; [unrolled: 3-line block ×28, first 2 shown]
	ds_read_b128 v[57:60], v19 offset:336
	ds_read_b128 v[61:64], v23 offset:80
	;; [unrolled: 1-line block ×6, first 2 shown]
	s_waitcnt lgkmcnt(4)
	;;#ASMSTART
	v_dot2_f32_f16 v53, v61, v57, v53
	;;#ASMEND
	;;#ASMSTART
	v_dot2_f32_f16 v53, v62, v58, v53
	;;#ASMEND
	;; [unrolled: 3-line block ×4, first 2 shown]
	s_waitcnt lgkmcnt(0)
	;;#ASMSTART
	v_dot2_f32_f16 v14, v61, v77, v14
	;;#ASMEND
	;;#ASMSTART
	v_dot2_f32_f16 v14, v62, v78, v14
	;;#ASMEND
	;; [unrolled: 3-line block ×28, first 2 shown]
	ds_read_b128 v[57:60], v19 offset:352
	ds_read_b128 v[61:64], v23 offset:96
	;; [unrolled: 1-line block ×6, first 2 shown]
	s_waitcnt lgkmcnt(4)
	;;#ASMSTART
	v_dot2_f32_f16 v53, v61, v57, v53
	;;#ASMEND
	;;#ASMSTART
	v_dot2_f32_f16 v53, v62, v58, v53
	;;#ASMEND
	;; [unrolled: 3-line block ×4, first 2 shown]
	s_waitcnt lgkmcnt(0)
	;;#ASMSTART
	v_dot2_f32_f16 v14, v61, v77, v14
	;;#ASMEND
	;;#ASMSTART
	v_dot2_f32_f16 v14, v62, v78, v14
	;;#ASMEND
	;; [unrolled: 3-line block ×28, first 2 shown]
	ds_read_b128 v[57:60], v19 offset:368
	ds_read_b128 v[61:64], v23 offset:112
	;; [unrolled: 1-line block ×6, first 2 shown]
	s_waitcnt lgkmcnt(4)
	;;#ASMSTART
	v_dot2_f32_f16 v53, v61, v57, v53
	;;#ASMEND
	;;#ASMSTART
	v_dot2_f32_f16 v53, v62, v58, v53
	;;#ASMEND
	;; [unrolled: 3-line block ×4, first 2 shown]
	s_waitcnt lgkmcnt(0)
	;;#ASMSTART
	v_dot2_f32_f16 v14, v61, v77, v14
	;;#ASMEND
	;;#ASMSTART
	v_dot2_f32_f16 v14, v62, v78, v14
	;;#ASMEND
	;; [unrolled: 3-line block ×28, first 2 shown]
	s_barrier
	global_load_dwordx4 v[57:60], v[1:2], off offset:384
	global_load_dwordx4 v[61:64], v[3:4], off offset:384
	s_waitcnt vmcnt(1)
	ds_write_b128 v21, v[57:60]
	s_waitcnt vmcnt(0)
	ds_write_b128 v22, v[61:64]
	s_waitcnt lgkmcnt(0)
	s_barrier
	ds_read_b128 v[57:60], v19 offset:384
	ds_read_b128 v[61:64], v23
	ds_read_b128 v[65:68], v23 offset:4608
	ds_read_b128 v[69:72], v23 offset:9216
	;; [unrolled: 1-line block ×4, first 2 shown]
	s_waitcnt lgkmcnt(4)
	;;#ASMSTART
	v_dot2_f32_f16 v53, v61, v57, v53
	;;#ASMEND
	;;#ASMSTART
	v_dot2_f32_f16 v53, v62, v58, v53
	;;#ASMEND
	;; [unrolled: 3-line block ×4, first 2 shown]
	s_waitcnt lgkmcnt(0)
	;;#ASMSTART
	v_dot2_f32_f16 v14, v61, v77, v14
	;;#ASMEND
	;;#ASMSTART
	v_dot2_f32_f16 v14, v62, v78, v14
	;;#ASMEND
	;; [unrolled: 3-line block ×28, first 2 shown]
	ds_read_b128 v[57:60], v19 offset:400
	ds_read_b128 v[61:64], v23 offset:16
	;; [unrolled: 1-line block ×6, first 2 shown]
	s_waitcnt lgkmcnt(4)
	;;#ASMSTART
	v_dot2_f32_f16 v53, v61, v57, v53
	;;#ASMEND
	;;#ASMSTART
	v_dot2_f32_f16 v53, v62, v58, v53
	;;#ASMEND
	;; [unrolled: 3-line block ×4, first 2 shown]
	s_waitcnt lgkmcnt(0)
	;;#ASMSTART
	v_dot2_f32_f16 v14, v61, v77, v14
	;;#ASMEND
	;;#ASMSTART
	v_dot2_f32_f16 v14, v62, v78, v14
	;;#ASMEND
	;; [unrolled: 3-line block ×28, first 2 shown]
	ds_read_b128 v[57:60], v19 offset:416
	ds_read_b128 v[61:64], v23 offset:32
	;; [unrolled: 1-line block ×6, first 2 shown]
	s_waitcnt lgkmcnt(4)
	;;#ASMSTART
	v_dot2_f32_f16 v53, v61, v57, v53
	;;#ASMEND
	;;#ASMSTART
	v_dot2_f32_f16 v53, v62, v58, v53
	;;#ASMEND
	;; [unrolled: 3-line block ×4, first 2 shown]
	s_waitcnt lgkmcnt(0)
	;;#ASMSTART
	v_dot2_f32_f16 v14, v61, v77, v14
	;;#ASMEND
	;;#ASMSTART
	v_dot2_f32_f16 v14, v62, v78, v14
	;;#ASMEND
	;; [unrolled: 3-line block ×28, first 2 shown]
	ds_read_b128 v[57:60], v19 offset:432
	ds_read_b128 v[61:64], v23 offset:48
	;; [unrolled: 1-line block ×6, first 2 shown]
	s_waitcnt lgkmcnt(4)
	;;#ASMSTART
	v_dot2_f32_f16 v53, v61, v57, v53
	;;#ASMEND
	;;#ASMSTART
	v_dot2_f32_f16 v53, v62, v58, v53
	;;#ASMEND
	;; [unrolled: 3-line block ×4, first 2 shown]
	s_waitcnt lgkmcnt(0)
	;;#ASMSTART
	v_dot2_f32_f16 v14, v61, v77, v14
	;;#ASMEND
	;;#ASMSTART
	v_dot2_f32_f16 v14, v62, v78, v14
	;;#ASMEND
	;;#ASMSTART
	v_dot2_f32_f16 v14, v63, v79, v14
	;;#ASMEND
	;;#ASMSTART
	v_dot2_f32_f16 v14, v64, v80, v14
	;;#ASMEND
	;;#ASMSTART
	v_dot2_f32_f16 v54, v65, v57, v54
	;;#ASMEND
	;;#ASMSTART
	v_dot2_f32_f16 v54, v66, v58, v54
	;;#ASMEND
	;;#ASMSTART
	v_dot2_f32_f16 v54, v67, v59, v54
	;;#ASMEND
	;;#ASMSTART
	v_dot2_f32_f16 v54, v68, v60, v54
	;;#ASMEND
	;;#ASMSTART
	v_dot2_f32_f16 v15, v65, v77, v15
	;;#ASMEND
	;;#ASMSTART
	v_dot2_f32_f16 v15, v66, v78, v15
	;;#ASMEND
	;;#ASMSTART
	v_dot2_f32_f16 v15, v67, v79, v15
	;;#ASMEND
	;;#ASMSTART
	v_dot2_f32_f16 v15, v68, v80, v15
	;;#ASMEND
	;;#ASMSTART
	v_dot2_f32_f16 v55, v69, v57, v55
	;;#ASMEND
	;;#ASMSTART
	v_dot2_f32_f16 v55, v70, v58, v55
	;;#ASMEND
	;;#ASMSTART
	v_dot2_f32_f16 v55, v71, v59, v55
	;;#ASMEND
	;;#ASMSTART
	v_dot2_f32_f16 v55, v72, v60, v55
	;;#ASMEND
	;;#ASMSTART
	v_dot2_f32_f16 v51, v69, v77, v51
	;;#ASMEND
	;;#ASMSTART
	v_dot2_f32_f16 v51, v70, v78, v51
	;;#ASMEND
	;;#ASMSTART
	v_dot2_f32_f16 v51, v71, v79, v51
	;;#ASMEND
	;;#ASMSTART
	v_dot2_f32_f16 v51, v72, v80, v51
	;;#ASMEND
	;;#ASMSTART
	v_dot2_f32_f16 v56, v73, v57, v56
	;;#ASMEND
	;;#ASMSTART
	v_dot2_f32_f16 v56, v74, v58, v56
	;;#ASMEND
	;;#ASMSTART
	v_dot2_f32_f16 v56, v75, v59, v56
	;;#ASMEND
	;;#ASMSTART
	v_dot2_f32_f16 v56, v76, v60, v56
	;;#ASMEND
	;;#ASMSTART
	v_dot2_f32_f16 v52, v73, v77, v52
	;;#ASMEND
	;;#ASMSTART
	v_dot2_f32_f16 v52, v74, v78, v52
	;;#ASMEND
	;;#ASMSTART
	v_dot2_f32_f16 v52, v75, v79, v52
	;;#ASMEND
	;;#ASMSTART
	v_dot2_f32_f16 v52, v76, v80, v52
	;;#ASMEND
	ds_read_b128 v[57:60], v19 offset:448
	ds_read_b128 v[61:64], v23 offset:64
	ds_read_b128 v[65:68], v23 offset:4672
	ds_read_b128 v[69:72], v23 offset:9280
	ds_read_b128 v[73:76], v23 offset:13888
	ds_read_b128 v[77:80], v19 offset:1600
	s_waitcnt lgkmcnt(4)
	;;#ASMSTART
	v_dot2_f32_f16 v53, v61, v57, v53
	;;#ASMEND
	;;#ASMSTART
	v_dot2_f32_f16 v53, v62, v58, v53
	;;#ASMEND
	;;#ASMSTART
	v_dot2_f32_f16 v53, v63, v59, v53
	;;#ASMEND
	;;#ASMSTART
	v_dot2_f32_f16 v53, v64, v60, v53
	;;#ASMEND
	s_waitcnt lgkmcnt(0)
	;;#ASMSTART
	v_dot2_f32_f16 v14, v61, v77, v14
	;;#ASMEND
	;;#ASMSTART
	v_dot2_f32_f16 v14, v62, v78, v14
	;;#ASMEND
	;; [unrolled: 3-line block ×28, first 2 shown]
	ds_read_b128 v[57:60], v19 offset:464
	ds_read_b128 v[61:64], v23 offset:80
	;; [unrolled: 1-line block ×6, first 2 shown]
	s_waitcnt lgkmcnt(4)
	;;#ASMSTART
	v_dot2_f32_f16 v53, v61, v57, v53
	;;#ASMEND
	;;#ASMSTART
	v_dot2_f32_f16 v53, v62, v58, v53
	;;#ASMEND
	;;#ASMSTART
	v_dot2_f32_f16 v53, v63, v59, v53
	;;#ASMEND
	;;#ASMSTART
	v_dot2_f32_f16 v53, v64, v60, v53
	;;#ASMEND
	s_waitcnt lgkmcnt(0)
	;;#ASMSTART
	v_dot2_f32_f16 v14, v61, v77, v14
	;;#ASMEND
	;;#ASMSTART
	v_dot2_f32_f16 v14, v62, v78, v14
	;;#ASMEND
	;; [unrolled: 3-line block ×28, first 2 shown]
	ds_read_b128 v[57:60], v19 offset:480
	ds_read_b128 v[61:64], v23 offset:96
	;; [unrolled: 1-line block ×6, first 2 shown]
	s_waitcnt lgkmcnt(4)
	;;#ASMSTART
	v_dot2_f32_f16 v53, v61, v57, v53
	;;#ASMEND
	;;#ASMSTART
	v_dot2_f32_f16 v53, v62, v58, v53
	;;#ASMEND
	;; [unrolled: 3-line block ×4, first 2 shown]
	s_waitcnt lgkmcnt(0)
	;;#ASMSTART
	v_dot2_f32_f16 v14, v61, v77, v14
	;;#ASMEND
	;;#ASMSTART
	v_dot2_f32_f16 v14, v62, v78, v14
	;;#ASMEND
	;; [unrolled: 3-line block ×28, first 2 shown]
	ds_read_b128 v[57:60], v19 offset:496
	ds_read_b128 v[61:64], v23 offset:112
	;; [unrolled: 1-line block ×6, first 2 shown]
	s_waitcnt lgkmcnt(4)
	;;#ASMSTART
	v_dot2_f32_f16 v53, v61, v57, v53
	;;#ASMEND
	;;#ASMSTART
	v_dot2_f32_f16 v53, v62, v58, v53
	;;#ASMEND
	;;#ASMSTART
	v_dot2_f32_f16 v53, v63, v59, v53
	;;#ASMEND
	;;#ASMSTART
	v_dot2_f32_f16 v53, v64, v60, v53
	;;#ASMEND
	s_waitcnt lgkmcnt(0)
	;;#ASMSTART
	v_dot2_f32_f16 v14, v61, v77, v14
	;;#ASMEND
	;;#ASMSTART
	v_dot2_f32_f16 v14, v62, v78, v14
	;;#ASMEND
	;; [unrolled: 3-line block ×28, first 2 shown]
	s_barrier
	global_load_dwordx4 v[57:60], v[1:2], off offset:512
	global_load_dwordx4 v[61:64], v[3:4], off offset:512
	s_waitcnt vmcnt(1)
	ds_write_b128 v21, v[57:60]
	s_waitcnt vmcnt(0)
	ds_write_b128 v22, v[61:64]
	s_waitcnt lgkmcnt(0)
	s_barrier
	ds_read_b128 v[57:60], v19 offset:512
	ds_read_b128 v[61:64], v23
	ds_read_b128 v[65:68], v23 offset:4608
	ds_read_b128 v[69:72], v23 offset:9216
	;; [unrolled: 1-line block ×4, first 2 shown]
	s_waitcnt lgkmcnt(4)
	;;#ASMSTART
	v_dot2_f32_f16 v53, v61, v57, v53
	;;#ASMEND
	;;#ASMSTART
	v_dot2_f32_f16 v53, v62, v58, v53
	;;#ASMEND
	;; [unrolled: 3-line block ×4, first 2 shown]
	s_waitcnt lgkmcnt(0)
	;;#ASMSTART
	v_dot2_f32_f16 v14, v61, v77, v14
	;;#ASMEND
	;;#ASMSTART
	v_dot2_f32_f16 v14, v62, v78, v14
	;;#ASMEND
	;; [unrolled: 3-line block ×28, first 2 shown]
	ds_read_b128 v[57:60], v19 offset:528
	ds_read_b128 v[61:64], v23 offset:16
	;; [unrolled: 1-line block ×6, first 2 shown]
	s_waitcnt lgkmcnt(4)
	;;#ASMSTART
	v_dot2_f32_f16 v53, v61, v57, v53
	;;#ASMEND
	;;#ASMSTART
	v_dot2_f32_f16 v53, v62, v58, v53
	;;#ASMEND
	;; [unrolled: 3-line block ×4, first 2 shown]
	s_waitcnt lgkmcnt(0)
	;;#ASMSTART
	v_dot2_f32_f16 v14, v61, v77, v14
	;;#ASMEND
	;;#ASMSTART
	v_dot2_f32_f16 v14, v62, v78, v14
	;;#ASMEND
	;;#ASMSTART
	v_dot2_f32_f16 v14, v63, v79, v14
	;;#ASMEND
	;;#ASMSTART
	v_dot2_f32_f16 v14, v64, v80, v14
	;;#ASMEND
	;;#ASMSTART
	v_dot2_f32_f16 v54, v65, v57, v54
	;;#ASMEND
	;;#ASMSTART
	v_dot2_f32_f16 v54, v66, v58, v54
	;;#ASMEND
	;;#ASMSTART
	v_dot2_f32_f16 v54, v67, v59, v54
	;;#ASMEND
	;;#ASMSTART
	v_dot2_f32_f16 v54, v68, v60, v54
	;;#ASMEND
	;;#ASMSTART
	v_dot2_f32_f16 v15, v65, v77, v15
	;;#ASMEND
	;;#ASMSTART
	v_dot2_f32_f16 v15, v66, v78, v15
	;;#ASMEND
	;;#ASMSTART
	v_dot2_f32_f16 v15, v67, v79, v15
	;;#ASMEND
	;;#ASMSTART
	v_dot2_f32_f16 v15, v68, v80, v15
	;;#ASMEND
	;;#ASMSTART
	v_dot2_f32_f16 v55, v69, v57, v55
	;;#ASMEND
	;;#ASMSTART
	v_dot2_f32_f16 v55, v70, v58, v55
	;;#ASMEND
	;;#ASMSTART
	v_dot2_f32_f16 v55, v71, v59, v55
	;;#ASMEND
	;;#ASMSTART
	v_dot2_f32_f16 v55, v72, v60, v55
	;;#ASMEND
	;;#ASMSTART
	v_dot2_f32_f16 v51, v69, v77, v51
	;;#ASMEND
	;;#ASMSTART
	v_dot2_f32_f16 v51, v70, v78, v51
	;;#ASMEND
	;;#ASMSTART
	v_dot2_f32_f16 v51, v71, v79, v51
	;;#ASMEND
	;;#ASMSTART
	v_dot2_f32_f16 v51, v72, v80, v51
	;;#ASMEND
	;;#ASMSTART
	v_dot2_f32_f16 v56, v73, v57, v56
	;;#ASMEND
	;;#ASMSTART
	v_dot2_f32_f16 v56, v74, v58, v56
	;;#ASMEND
	;;#ASMSTART
	v_dot2_f32_f16 v56, v75, v59, v56
	;;#ASMEND
	;;#ASMSTART
	v_dot2_f32_f16 v56, v76, v60, v56
	;;#ASMEND
	;;#ASMSTART
	v_dot2_f32_f16 v52, v73, v77, v52
	;;#ASMEND
	;;#ASMSTART
	v_dot2_f32_f16 v52, v74, v78, v52
	;;#ASMEND
	;;#ASMSTART
	v_dot2_f32_f16 v52, v75, v79, v52
	;;#ASMEND
	;;#ASMSTART
	v_dot2_f32_f16 v52, v76, v80, v52
	;;#ASMEND
	ds_read_b128 v[57:60], v19 offset:544
	ds_read_b128 v[61:64], v23 offset:32
	;; [unrolled: 1-line block ×6, first 2 shown]
	s_waitcnt lgkmcnt(4)
	;;#ASMSTART
	v_dot2_f32_f16 v53, v61, v57, v53
	;;#ASMEND
	;;#ASMSTART
	v_dot2_f32_f16 v53, v62, v58, v53
	;;#ASMEND
	;; [unrolled: 3-line block ×4, first 2 shown]
	s_waitcnt lgkmcnt(0)
	;;#ASMSTART
	v_dot2_f32_f16 v14, v61, v77, v14
	;;#ASMEND
	;;#ASMSTART
	v_dot2_f32_f16 v14, v62, v78, v14
	;;#ASMEND
	;; [unrolled: 3-line block ×28, first 2 shown]
	ds_read_b128 v[57:60], v19 offset:560
	ds_read_b128 v[61:64], v23 offset:48
	;; [unrolled: 1-line block ×6, first 2 shown]
	s_waitcnt lgkmcnt(4)
	;;#ASMSTART
	v_dot2_f32_f16 v53, v61, v57, v53
	;;#ASMEND
	;;#ASMSTART
	v_dot2_f32_f16 v53, v62, v58, v53
	;;#ASMEND
	;; [unrolled: 3-line block ×4, first 2 shown]
	s_waitcnt lgkmcnt(0)
	;;#ASMSTART
	v_dot2_f32_f16 v14, v61, v77, v14
	;;#ASMEND
	;;#ASMSTART
	v_dot2_f32_f16 v14, v62, v78, v14
	;;#ASMEND
	;; [unrolled: 3-line block ×28, first 2 shown]
	ds_read_b128 v[57:60], v19 offset:576
	ds_read_b128 v[61:64], v23 offset:64
	;; [unrolled: 1-line block ×6, first 2 shown]
	s_waitcnt lgkmcnt(4)
	;;#ASMSTART
	v_dot2_f32_f16 v53, v61, v57, v53
	;;#ASMEND
	;;#ASMSTART
	v_dot2_f32_f16 v53, v62, v58, v53
	;;#ASMEND
	;; [unrolled: 3-line block ×4, first 2 shown]
	s_waitcnt lgkmcnt(0)
	;;#ASMSTART
	v_dot2_f32_f16 v14, v61, v77, v14
	;;#ASMEND
	;;#ASMSTART
	v_dot2_f32_f16 v14, v62, v78, v14
	;;#ASMEND
	;; [unrolled: 3-line block ×28, first 2 shown]
	ds_read_b128 v[57:60], v19 offset:592
	ds_read_b128 v[61:64], v23 offset:80
	ds_read_b128 v[65:68], v23 offset:4688
	ds_read_b128 v[69:72], v23 offset:9296
	ds_read_b128 v[73:76], v23 offset:13904
	ds_read_b128 v[77:80], v19 offset:1744
	s_waitcnt lgkmcnt(4)
	;;#ASMSTART
	v_dot2_f32_f16 v53, v61, v57, v53
	;;#ASMEND
	;;#ASMSTART
	v_dot2_f32_f16 v53, v62, v58, v53
	;;#ASMEND
	;; [unrolled: 3-line block ×4, first 2 shown]
	s_waitcnt lgkmcnt(0)
	;;#ASMSTART
	v_dot2_f32_f16 v14, v61, v77, v14
	;;#ASMEND
	;;#ASMSTART
	v_dot2_f32_f16 v14, v62, v78, v14
	;;#ASMEND
	;;#ASMSTART
	v_dot2_f32_f16 v14, v63, v79, v14
	;;#ASMEND
	;;#ASMSTART
	v_dot2_f32_f16 v14, v64, v80, v14
	;;#ASMEND
	;;#ASMSTART
	v_dot2_f32_f16 v54, v65, v57, v54
	;;#ASMEND
	;;#ASMSTART
	v_dot2_f32_f16 v54, v66, v58, v54
	;;#ASMEND
	;;#ASMSTART
	v_dot2_f32_f16 v54, v67, v59, v54
	;;#ASMEND
	;;#ASMSTART
	v_dot2_f32_f16 v54, v68, v60, v54
	;;#ASMEND
	;;#ASMSTART
	v_dot2_f32_f16 v15, v65, v77, v15
	;;#ASMEND
	;;#ASMSTART
	v_dot2_f32_f16 v15, v66, v78, v15
	;;#ASMEND
	;;#ASMSTART
	v_dot2_f32_f16 v15, v67, v79, v15
	;;#ASMEND
	;;#ASMSTART
	v_dot2_f32_f16 v15, v68, v80, v15
	;;#ASMEND
	;;#ASMSTART
	v_dot2_f32_f16 v55, v69, v57, v55
	;;#ASMEND
	;;#ASMSTART
	v_dot2_f32_f16 v55, v70, v58, v55
	;;#ASMEND
	;;#ASMSTART
	v_dot2_f32_f16 v55, v71, v59, v55
	;;#ASMEND
	;;#ASMSTART
	v_dot2_f32_f16 v55, v72, v60, v55
	;;#ASMEND
	;;#ASMSTART
	v_dot2_f32_f16 v51, v69, v77, v51
	;;#ASMEND
	;;#ASMSTART
	v_dot2_f32_f16 v51, v70, v78, v51
	;;#ASMEND
	;;#ASMSTART
	v_dot2_f32_f16 v51, v71, v79, v51
	;;#ASMEND
	;;#ASMSTART
	v_dot2_f32_f16 v51, v72, v80, v51
	;;#ASMEND
	;;#ASMSTART
	v_dot2_f32_f16 v56, v73, v57, v56
	;;#ASMEND
	;;#ASMSTART
	v_dot2_f32_f16 v56, v74, v58, v56
	;;#ASMEND
	;;#ASMSTART
	v_dot2_f32_f16 v56, v75, v59, v56
	;;#ASMEND
	;;#ASMSTART
	v_dot2_f32_f16 v56, v76, v60, v56
	;;#ASMEND
	;;#ASMSTART
	v_dot2_f32_f16 v52, v73, v77, v52
	;;#ASMEND
	;;#ASMSTART
	v_dot2_f32_f16 v52, v74, v78, v52
	;;#ASMEND
	;;#ASMSTART
	v_dot2_f32_f16 v52, v75, v79, v52
	;;#ASMEND
	;;#ASMSTART
	v_dot2_f32_f16 v52, v76, v80, v52
	;;#ASMEND
	ds_read_b128 v[57:60], v19 offset:608
	ds_read_b128 v[61:64], v23 offset:96
	ds_read_b128 v[65:68], v23 offset:4704
	ds_read_b128 v[69:72], v23 offset:9312
	ds_read_b128 v[73:76], v23 offset:13920
	ds_read_b128 v[77:80], v19 offset:1760
	s_waitcnt lgkmcnt(4)
	;;#ASMSTART
	v_dot2_f32_f16 v53, v61, v57, v53
	;;#ASMEND
	;;#ASMSTART
	v_dot2_f32_f16 v53, v62, v58, v53
	;;#ASMEND
	;; [unrolled: 3-line block ×4, first 2 shown]
	s_waitcnt lgkmcnt(0)
	;;#ASMSTART
	v_dot2_f32_f16 v14, v61, v77, v14
	;;#ASMEND
	;;#ASMSTART
	v_dot2_f32_f16 v14, v62, v78, v14
	;;#ASMEND
	;; [unrolled: 3-line block ×28, first 2 shown]
	ds_read_b128 v[57:60], v19 offset:624
	ds_read_b128 v[61:64], v23 offset:112
	;; [unrolled: 1-line block ×6, first 2 shown]
	s_waitcnt lgkmcnt(4)
	;;#ASMSTART
	v_dot2_f32_f16 v53, v61, v57, v53
	;;#ASMEND
	;;#ASMSTART
	v_dot2_f32_f16 v53, v62, v58, v53
	;;#ASMEND
	;; [unrolled: 3-line block ×4, first 2 shown]
	s_waitcnt lgkmcnt(0)
	;;#ASMSTART
	v_dot2_f32_f16 v14, v61, v77, v14
	;;#ASMEND
	;;#ASMSTART
	v_dot2_f32_f16 v14, v62, v78, v14
	;;#ASMEND
	;; [unrolled: 3-line block ×28, first 2 shown]
	s_barrier
	global_load_dwordx4 v[57:60], v[1:2], off offset:640
	global_load_dwordx4 v[61:64], v[3:4], off offset:640
	s_waitcnt vmcnt(1)
	ds_write_b128 v21, v[57:60]
	s_waitcnt vmcnt(0)
	ds_write_b128 v22, v[61:64]
	s_waitcnt lgkmcnt(0)
	s_barrier
	ds_read_b128 v[57:60], v19 offset:640
	ds_read_b128 v[61:64], v23
	ds_read_b128 v[65:68], v23 offset:4608
	ds_read_b128 v[69:72], v23 offset:9216
	;; [unrolled: 1-line block ×4, first 2 shown]
	s_waitcnt lgkmcnt(4)
	;;#ASMSTART
	v_dot2_f32_f16 v53, v61, v57, v53
	;;#ASMEND
	;;#ASMSTART
	v_dot2_f32_f16 v53, v62, v58, v53
	;;#ASMEND
	;; [unrolled: 3-line block ×4, first 2 shown]
	s_waitcnt lgkmcnt(0)
	;;#ASMSTART
	v_dot2_f32_f16 v14, v61, v77, v14
	;;#ASMEND
	;;#ASMSTART
	v_dot2_f32_f16 v14, v62, v78, v14
	;;#ASMEND
	;; [unrolled: 3-line block ×28, first 2 shown]
	ds_read_b128 v[57:60], v19 offset:656
	ds_read_b128 v[61:64], v23 offset:16
	;; [unrolled: 1-line block ×6, first 2 shown]
	s_waitcnt lgkmcnt(4)
	;;#ASMSTART
	v_dot2_f32_f16 v53, v61, v57, v53
	;;#ASMEND
	;;#ASMSTART
	v_dot2_f32_f16 v53, v62, v58, v53
	;;#ASMEND
	;; [unrolled: 3-line block ×4, first 2 shown]
	s_waitcnt lgkmcnt(0)
	;;#ASMSTART
	v_dot2_f32_f16 v14, v61, v77, v14
	;;#ASMEND
	;;#ASMSTART
	v_dot2_f32_f16 v14, v62, v78, v14
	;;#ASMEND
	;; [unrolled: 3-line block ×28, first 2 shown]
	ds_read_b128 v[57:60], v19 offset:672
	ds_read_b128 v[61:64], v23 offset:32
	ds_read_b128 v[65:68], v23 offset:4640
	ds_read_b128 v[69:72], v23 offset:9248
	ds_read_b128 v[73:76], v23 offset:13856
	ds_read_b128 v[77:80], v19 offset:1824
	s_waitcnt lgkmcnt(4)
	;;#ASMSTART
	v_dot2_f32_f16 v53, v61, v57, v53
	;;#ASMEND
	;;#ASMSTART
	v_dot2_f32_f16 v53, v62, v58, v53
	;;#ASMEND
	;; [unrolled: 3-line block ×4, first 2 shown]
	s_waitcnt lgkmcnt(0)
	;;#ASMSTART
	v_dot2_f32_f16 v14, v61, v77, v14
	;;#ASMEND
	;;#ASMSTART
	v_dot2_f32_f16 v14, v62, v78, v14
	;;#ASMEND
	;; [unrolled: 3-line block ×28, first 2 shown]
	ds_read_b128 v[57:60], v19 offset:688
	ds_read_b128 v[61:64], v23 offset:48
	;; [unrolled: 1-line block ×6, first 2 shown]
	s_waitcnt lgkmcnt(4)
	;;#ASMSTART
	v_dot2_f32_f16 v53, v61, v57, v53
	;;#ASMEND
	;;#ASMSTART
	v_dot2_f32_f16 v53, v62, v58, v53
	;;#ASMEND
	;; [unrolled: 3-line block ×4, first 2 shown]
	s_waitcnt lgkmcnt(0)
	;;#ASMSTART
	v_dot2_f32_f16 v14, v61, v77, v14
	;;#ASMEND
	;;#ASMSTART
	v_dot2_f32_f16 v14, v62, v78, v14
	;;#ASMEND
	;; [unrolled: 3-line block ×28, first 2 shown]
	ds_read_b128 v[57:60], v19 offset:704
	ds_read_b128 v[61:64], v23 offset:64
	;; [unrolled: 1-line block ×6, first 2 shown]
	s_waitcnt lgkmcnt(4)
	;;#ASMSTART
	v_dot2_f32_f16 v53, v61, v57, v53
	;;#ASMEND
	;;#ASMSTART
	v_dot2_f32_f16 v53, v62, v58, v53
	;;#ASMEND
	;; [unrolled: 3-line block ×4, first 2 shown]
	s_waitcnt lgkmcnt(0)
	;;#ASMSTART
	v_dot2_f32_f16 v14, v61, v77, v14
	;;#ASMEND
	;;#ASMSTART
	v_dot2_f32_f16 v14, v62, v78, v14
	;;#ASMEND
	;; [unrolled: 3-line block ×28, first 2 shown]
	ds_read_b128 v[57:60], v19 offset:720
	ds_read_b128 v[61:64], v23 offset:80
	ds_read_b128 v[65:68], v23 offset:4688
	ds_read_b128 v[69:72], v23 offset:9296
	ds_read_b128 v[73:76], v23 offset:13904
	ds_read_b128 v[77:80], v19 offset:1872
	s_waitcnt lgkmcnt(4)
	;;#ASMSTART
	v_dot2_f32_f16 v53, v61, v57, v53
	;;#ASMEND
	;;#ASMSTART
	v_dot2_f32_f16 v53, v62, v58, v53
	;;#ASMEND
	;; [unrolled: 3-line block ×4, first 2 shown]
	s_waitcnt lgkmcnt(0)
	;;#ASMSTART
	v_dot2_f32_f16 v14, v61, v77, v14
	;;#ASMEND
	;;#ASMSTART
	v_dot2_f32_f16 v14, v62, v78, v14
	;;#ASMEND
	;; [unrolled: 3-line block ×28, first 2 shown]
	ds_read_b128 v[57:60], v19 offset:736
	ds_read_b128 v[61:64], v23 offset:96
	;; [unrolled: 1-line block ×6, first 2 shown]
	s_waitcnt lgkmcnt(4)
	;;#ASMSTART
	v_dot2_f32_f16 v53, v61, v57, v53
	;;#ASMEND
	;;#ASMSTART
	v_dot2_f32_f16 v53, v62, v58, v53
	;;#ASMEND
	;; [unrolled: 3-line block ×4, first 2 shown]
	s_waitcnt lgkmcnt(0)
	;;#ASMSTART
	v_dot2_f32_f16 v14, v61, v77, v14
	;;#ASMEND
	;;#ASMSTART
	v_dot2_f32_f16 v14, v62, v78, v14
	;;#ASMEND
	;; [unrolled: 3-line block ×28, first 2 shown]
	ds_read_b128 v[57:60], v19 offset:752
	ds_read_b128 v[61:64], v23 offset:112
	;; [unrolled: 1-line block ×6, first 2 shown]
	s_waitcnt lgkmcnt(4)
	;;#ASMSTART
	v_dot2_f32_f16 v53, v61, v57, v53
	;;#ASMEND
	;;#ASMSTART
	v_dot2_f32_f16 v53, v62, v58, v53
	;;#ASMEND
	;; [unrolled: 3-line block ×4, first 2 shown]
	s_waitcnt lgkmcnt(0)
	;;#ASMSTART
	v_dot2_f32_f16 v14, v61, v77, v14
	;;#ASMEND
	;;#ASMSTART
	v_dot2_f32_f16 v14, v62, v78, v14
	;;#ASMEND
	;;#ASMSTART
	v_dot2_f32_f16 v14, v63, v79, v14
	;;#ASMEND
	;;#ASMSTART
	v_dot2_f32_f16 v14, v64, v80, v14
	;;#ASMEND
	;;#ASMSTART
	v_dot2_f32_f16 v54, v65, v57, v54
	;;#ASMEND
	;;#ASMSTART
	v_dot2_f32_f16 v54, v66, v58, v54
	;;#ASMEND
	;;#ASMSTART
	v_dot2_f32_f16 v54, v67, v59, v54
	;;#ASMEND
	;;#ASMSTART
	v_dot2_f32_f16 v54, v68, v60, v54
	;;#ASMEND
	;;#ASMSTART
	v_dot2_f32_f16 v15, v65, v77, v15
	;;#ASMEND
	;;#ASMSTART
	v_dot2_f32_f16 v15, v66, v78, v15
	;;#ASMEND
	;;#ASMSTART
	v_dot2_f32_f16 v15, v67, v79, v15
	;;#ASMEND
	;;#ASMSTART
	v_dot2_f32_f16 v15, v68, v80, v15
	;;#ASMEND
	;;#ASMSTART
	v_dot2_f32_f16 v55, v69, v57, v55
	;;#ASMEND
	;;#ASMSTART
	v_dot2_f32_f16 v55, v70, v58, v55
	;;#ASMEND
	;;#ASMSTART
	v_dot2_f32_f16 v55, v71, v59, v55
	;;#ASMEND
	;;#ASMSTART
	v_dot2_f32_f16 v55, v72, v60, v55
	;;#ASMEND
	;;#ASMSTART
	v_dot2_f32_f16 v51, v69, v77, v51
	;;#ASMEND
	;;#ASMSTART
	v_dot2_f32_f16 v51, v70, v78, v51
	;;#ASMEND
	;;#ASMSTART
	v_dot2_f32_f16 v51, v71, v79, v51
	;;#ASMEND
	;;#ASMSTART
	v_dot2_f32_f16 v51, v72, v80, v51
	;;#ASMEND
	;;#ASMSTART
	v_dot2_f32_f16 v56, v73, v57, v56
	;;#ASMEND
	;;#ASMSTART
	v_dot2_f32_f16 v56, v74, v58, v56
	;;#ASMEND
	;;#ASMSTART
	v_dot2_f32_f16 v56, v75, v59, v56
	;;#ASMEND
	;;#ASMSTART
	v_dot2_f32_f16 v56, v76, v60, v56
	;;#ASMEND
	;;#ASMSTART
	v_dot2_f32_f16 v52, v73, v77, v52
	;;#ASMEND
	;;#ASMSTART
	v_dot2_f32_f16 v52, v74, v78, v52
	;;#ASMEND
	;;#ASMSTART
	v_dot2_f32_f16 v52, v75, v79, v52
	;;#ASMEND
	;;#ASMSTART
	v_dot2_f32_f16 v52, v76, v80, v52
	;;#ASMEND
	s_barrier
	global_load_dwordx4 v[57:60], v[1:2], off offset:768
	global_load_dwordx4 v[61:64], v[3:4], off offset:768
	s_waitcnt vmcnt(1)
	ds_write_b128 v21, v[57:60]
	s_waitcnt vmcnt(0)
	ds_write_b128 v22, v[61:64]
	s_waitcnt lgkmcnt(0)
	s_barrier
	ds_read_b128 v[57:60], v19 offset:768
	ds_read_b128 v[61:64], v23
	ds_read_b128 v[65:68], v23 offset:4608
	ds_read_b128 v[69:72], v23 offset:9216
	;; [unrolled: 1-line block ×4, first 2 shown]
	s_waitcnt lgkmcnt(4)
	;;#ASMSTART
	v_dot2_f32_f16 v53, v61, v57, v53
	;;#ASMEND
	;;#ASMSTART
	v_dot2_f32_f16 v53, v62, v58, v53
	;;#ASMEND
	;; [unrolled: 3-line block ×4, first 2 shown]
	s_waitcnt lgkmcnt(0)
	;;#ASMSTART
	v_dot2_f32_f16 v14, v61, v77, v14
	;;#ASMEND
	;;#ASMSTART
	v_dot2_f32_f16 v14, v62, v78, v14
	;;#ASMEND
	;; [unrolled: 3-line block ×28, first 2 shown]
	ds_read_b128 v[57:60], v19 offset:784
	ds_read_b128 v[61:64], v23 offset:16
	;; [unrolled: 1-line block ×6, first 2 shown]
	s_waitcnt lgkmcnt(4)
	;;#ASMSTART
	v_dot2_f32_f16 v53, v61, v57, v53
	;;#ASMEND
	;;#ASMSTART
	v_dot2_f32_f16 v53, v62, v58, v53
	;;#ASMEND
	;; [unrolled: 3-line block ×4, first 2 shown]
	s_waitcnt lgkmcnt(0)
	;;#ASMSTART
	v_dot2_f32_f16 v14, v61, v77, v14
	;;#ASMEND
	;;#ASMSTART
	v_dot2_f32_f16 v14, v62, v78, v14
	;;#ASMEND
	;; [unrolled: 3-line block ×28, first 2 shown]
	ds_read_b128 v[57:60], v19 offset:800
	ds_read_b128 v[61:64], v23 offset:32
	;; [unrolled: 1-line block ×6, first 2 shown]
	s_waitcnt lgkmcnt(4)
	;;#ASMSTART
	v_dot2_f32_f16 v53, v61, v57, v53
	;;#ASMEND
	;;#ASMSTART
	v_dot2_f32_f16 v53, v62, v58, v53
	;;#ASMEND
	;; [unrolled: 3-line block ×4, first 2 shown]
	s_waitcnt lgkmcnt(0)
	;;#ASMSTART
	v_dot2_f32_f16 v14, v61, v77, v14
	;;#ASMEND
	;;#ASMSTART
	v_dot2_f32_f16 v14, v62, v78, v14
	;;#ASMEND
	;; [unrolled: 3-line block ×28, first 2 shown]
	ds_read_b128 v[57:60], v19 offset:816
	ds_read_b128 v[61:64], v23 offset:48
	ds_read_b128 v[65:68], v23 offset:4656
	ds_read_b128 v[69:72], v23 offset:9264
	ds_read_b128 v[73:76], v23 offset:13872
	ds_read_b128 v[77:80], v19 offset:1968
	s_waitcnt lgkmcnt(4)
	;;#ASMSTART
	v_dot2_f32_f16 v53, v61, v57, v53
	;;#ASMEND
	;;#ASMSTART
	v_dot2_f32_f16 v53, v62, v58, v53
	;;#ASMEND
	;; [unrolled: 3-line block ×4, first 2 shown]
	s_waitcnt lgkmcnt(0)
	;;#ASMSTART
	v_dot2_f32_f16 v14, v61, v77, v14
	;;#ASMEND
	;;#ASMSTART
	v_dot2_f32_f16 v14, v62, v78, v14
	;;#ASMEND
	;; [unrolled: 3-line block ×28, first 2 shown]
	ds_read_b128 v[57:60], v19 offset:832
	ds_read_b128 v[61:64], v23 offset:64
	;; [unrolled: 1-line block ×6, first 2 shown]
	s_waitcnt lgkmcnt(4)
	;;#ASMSTART
	v_dot2_f32_f16 v53, v61, v57, v53
	;;#ASMEND
	;;#ASMSTART
	v_dot2_f32_f16 v53, v62, v58, v53
	;;#ASMEND
	;; [unrolled: 3-line block ×4, first 2 shown]
	s_waitcnt lgkmcnt(0)
	;;#ASMSTART
	v_dot2_f32_f16 v14, v61, v77, v14
	;;#ASMEND
	;;#ASMSTART
	v_dot2_f32_f16 v14, v62, v78, v14
	;;#ASMEND
	;; [unrolled: 3-line block ×28, first 2 shown]
	ds_read_b128 v[57:60], v19 offset:848
	ds_read_b128 v[61:64], v23 offset:80
	;; [unrolled: 1-line block ×6, first 2 shown]
	s_waitcnt lgkmcnt(4)
	;;#ASMSTART
	v_dot2_f32_f16 v53, v61, v57, v53
	;;#ASMEND
	;;#ASMSTART
	v_dot2_f32_f16 v53, v62, v58, v53
	;;#ASMEND
	;; [unrolled: 3-line block ×4, first 2 shown]
	s_waitcnt lgkmcnt(0)
	;;#ASMSTART
	v_dot2_f32_f16 v14, v61, v77, v14
	;;#ASMEND
	;;#ASMSTART
	v_dot2_f32_f16 v14, v62, v78, v14
	;;#ASMEND
	;; [unrolled: 3-line block ×28, first 2 shown]
	ds_read_b128 v[57:60], v19 offset:864
	ds_read_b128 v[61:64], v23 offset:96
	;; [unrolled: 1-line block ×6, first 2 shown]
	s_waitcnt lgkmcnt(4)
	;;#ASMSTART
	v_dot2_f32_f16 v53, v61, v57, v53
	;;#ASMEND
	;;#ASMSTART
	v_dot2_f32_f16 v53, v62, v58, v53
	;;#ASMEND
	;;#ASMSTART
	v_dot2_f32_f16 v53, v63, v59, v53
	;;#ASMEND
	;;#ASMSTART
	v_dot2_f32_f16 v53, v64, v60, v53
	;;#ASMEND
	s_waitcnt lgkmcnt(0)
	;;#ASMSTART
	v_dot2_f32_f16 v14, v61, v77, v14
	;;#ASMEND
	;;#ASMSTART
	v_dot2_f32_f16 v14, v62, v78, v14
	;;#ASMEND
	;; [unrolled: 3-line block ×28, first 2 shown]
	ds_read_b128 v[57:60], v19 offset:880
	ds_read_b128 v[61:64], v23 offset:112
	;; [unrolled: 1-line block ×6, first 2 shown]
	s_waitcnt lgkmcnt(4)
	;;#ASMSTART
	v_dot2_f32_f16 v53, v61, v57, v53
	;;#ASMEND
	;;#ASMSTART
	v_dot2_f32_f16 v53, v62, v58, v53
	;;#ASMEND
	;; [unrolled: 3-line block ×4, first 2 shown]
	s_waitcnt lgkmcnt(0)
	;;#ASMSTART
	v_dot2_f32_f16 v14, v61, v77, v14
	;;#ASMEND
	;;#ASMSTART
	v_dot2_f32_f16 v14, v62, v78, v14
	;;#ASMEND
	;; [unrolled: 3-line block ×28, first 2 shown]
	s_barrier
	global_load_dwordx4 v[57:60], v[1:2], off offset:896
	global_load_dwordx4 v[61:64], v[3:4], off offset:896
	s_waitcnt vmcnt(1)
	ds_write_b128 v21, v[57:60]
	s_waitcnt vmcnt(0)
	ds_write_b128 v22, v[61:64]
	s_waitcnt lgkmcnt(0)
	s_barrier
	ds_read_b128 v[57:60], v19 offset:896
	ds_read_b128 v[61:64], v23
	ds_read_b128 v[65:68], v23 offset:4608
	ds_read_b128 v[69:72], v23 offset:9216
	;; [unrolled: 1-line block ×4, first 2 shown]
	s_waitcnt lgkmcnt(4)
	;;#ASMSTART
	v_dot2_f32_f16 v53, v61, v57, v53
	;;#ASMEND
	;;#ASMSTART
	v_dot2_f32_f16 v53, v62, v58, v53
	;;#ASMEND
	;; [unrolled: 3-line block ×4, first 2 shown]
	s_waitcnt lgkmcnt(0)
	;;#ASMSTART
	v_dot2_f32_f16 v14, v61, v77, v14
	;;#ASMEND
	;;#ASMSTART
	v_dot2_f32_f16 v14, v62, v78, v14
	;;#ASMEND
	;; [unrolled: 3-line block ×28, first 2 shown]
	ds_read_b128 v[57:60], v19 offset:912
	ds_read_b128 v[61:64], v23 offset:16
	;; [unrolled: 1-line block ×6, first 2 shown]
	s_waitcnt lgkmcnt(4)
	;;#ASMSTART
	v_dot2_f32_f16 v53, v61, v57, v53
	;;#ASMEND
	;;#ASMSTART
	v_dot2_f32_f16 v53, v62, v58, v53
	;;#ASMEND
	;; [unrolled: 3-line block ×4, first 2 shown]
	s_waitcnt lgkmcnt(0)
	;;#ASMSTART
	v_dot2_f32_f16 v14, v61, v77, v14
	;;#ASMEND
	;;#ASMSTART
	v_dot2_f32_f16 v14, v62, v78, v14
	;;#ASMEND
	;; [unrolled: 3-line block ×28, first 2 shown]
	ds_read_b128 v[57:60], v19 offset:928
	ds_read_b128 v[61:64], v23 offset:32
	;; [unrolled: 1-line block ×6, first 2 shown]
	s_waitcnt lgkmcnt(4)
	;;#ASMSTART
	v_dot2_f32_f16 v53, v61, v57, v53
	;;#ASMEND
	;;#ASMSTART
	v_dot2_f32_f16 v53, v62, v58, v53
	;;#ASMEND
	;;#ASMSTART
	v_dot2_f32_f16 v53, v63, v59, v53
	;;#ASMEND
	;;#ASMSTART
	v_dot2_f32_f16 v53, v64, v60, v53
	;;#ASMEND
	s_waitcnt lgkmcnt(0)
	;;#ASMSTART
	v_dot2_f32_f16 v14, v61, v77, v14
	;;#ASMEND
	;;#ASMSTART
	v_dot2_f32_f16 v14, v62, v78, v14
	;;#ASMEND
	;; [unrolled: 3-line block ×28, first 2 shown]
	ds_read_b128 v[57:60], v19 offset:944
	ds_read_b128 v[61:64], v23 offset:48
	;; [unrolled: 1-line block ×6, first 2 shown]
	s_waitcnt lgkmcnt(4)
	;;#ASMSTART
	v_dot2_f32_f16 v53, v61, v57, v53
	;;#ASMEND
	;;#ASMSTART
	v_dot2_f32_f16 v53, v62, v58, v53
	;;#ASMEND
	;; [unrolled: 3-line block ×4, first 2 shown]
	s_waitcnt lgkmcnt(0)
	;;#ASMSTART
	v_dot2_f32_f16 v14, v61, v77, v14
	;;#ASMEND
	;;#ASMSTART
	v_dot2_f32_f16 v14, v62, v78, v14
	;;#ASMEND
	;; [unrolled: 3-line block ×28, first 2 shown]
	ds_read_b128 v[57:60], v19 offset:960
	ds_read_b128 v[61:64], v23 offset:64
	;; [unrolled: 1-line block ×6, first 2 shown]
	s_waitcnt lgkmcnt(4)
	;;#ASMSTART
	v_dot2_f32_f16 v53, v61, v57, v53
	;;#ASMEND
	;;#ASMSTART
	v_dot2_f32_f16 v53, v62, v58, v53
	;;#ASMEND
	;;#ASMSTART
	v_dot2_f32_f16 v53, v63, v59, v53
	;;#ASMEND
	;;#ASMSTART
	v_dot2_f32_f16 v53, v64, v60, v53
	;;#ASMEND
	s_waitcnt lgkmcnt(0)
	;;#ASMSTART
	v_dot2_f32_f16 v14, v61, v77, v14
	;;#ASMEND
	;;#ASMSTART
	v_dot2_f32_f16 v14, v62, v78, v14
	;;#ASMEND
	;; [unrolled: 3-line block ×28, first 2 shown]
	ds_read_b128 v[57:60], v19 offset:976
	ds_read_b128 v[61:64], v23 offset:80
	ds_read_b128 v[65:68], v23 offset:4688
	ds_read_b128 v[69:72], v23 offset:9296
	ds_read_b128 v[73:76], v23 offset:13904
	ds_read_b128 v[77:80], v19 offset:2128
	s_waitcnt lgkmcnt(4)
	;;#ASMSTART
	v_dot2_f32_f16 v53, v61, v57, v53
	;;#ASMEND
	;;#ASMSTART
	v_dot2_f32_f16 v53, v62, v58, v53
	;;#ASMEND
	;;#ASMSTART
	v_dot2_f32_f16 v53, v63, v59, v53
	;;#ASMEND
	;;#ASMSTART
	v_dot2_f32_f16 v53, v64, v60, v53
	;;#ASMEND
	s_waitcnt lgkmcnt(0)
	;;#ASMSTART
	v_dot2_f32_f16 v14, v61, v77, v14
	;;#ASMEND
	;;#ASMSTART
	v_dot2_f32_f16 v14, v62, v78, v14
	;;#ASMEND
	;; [unrolled: 3-line block ×28, first 2 shown]
	ds_read_b128 v[57:60], v19 offset:992
	ds_read_b128 v[61:64], v23 offset:96
	;; [unrolled: 1-line block ×6, first 2 shown]
	s_waitcnt lgkmcnt(4)
	;;#ASMSTART
	v_dot2_f32_f16 v53, v61, v57, v53
	;;#ASMEND
	;;#ASMSTART
	v_dot2_f32_f16 v53, v62, v58, v53
	;;#ASMEND
	;; [unrolled: 3-line block ×4, first 2 shown]
	s_waitcnt lgkmcnt(0)
	;;#ASMSTART
	v_dot2_f32_f16 v14, v61, v77, v14
	;;#ASMEND
	;;#ASMSTART
	v_dot2_f32_f16 v14, v62, v78, v14
	;;#ASMEND
	;; [unrolled: 3-line block ×28, first 2 shown]
	ds_read_b128 v[57:60], v19 offset:1008
	ds_read_b128 v[61:64], v23 offset:112
	;; [unrolled: 1-line block ×6, first 2 shown]
	s_waitcnt lgkmcnt(4)
	;;#ASMSTART
	v_dot2_f32_f16 v53, v61, v57, v53
	;;#ASMEND
	;;#ASMSTART
	v_dot2_f32_f16 v53, v62, v58, v53
	;;#ASMEND
	;; [unrolled: 3-line block ×4, first 2 shown]
	s_waitcnt lgkmcnt(0)
	;;#ASMSTART
	v_dot2_f32_f16 v14, v61, v77, v14
	;;#ASMEND
	;;#ASMSTART
	v_dot2_f32_f16 v14, v62, v78, v14
	;;#ASMEND
	;; [unrolled: 3-line block ×28, first 2 shown]
	s_barrier
	global_load_dwordx4 v[57:60], v[1:2], off offset:1024
	s_nop 0
	global_load_dwordx4 v[1:4], v[3:4], off offset:1024
	s_waitcnt vmcnt(1)
	ds_write_b128 v21, v[57:60]
	s_waitcnt vmcnt(0)
	ds_write_b128 v22, v[1:4]
	s_waitcnt lgkmcnt(0)
	s_barrier
	ds_read_b128 v[1:4], v19 offset:1024
	ds_read_b128 v[57:60], v23
	ds_read_b128 v[61:64], v23 offset:4608
	ds_read_b128 v[65:68], v23 offset:9216
	;; [unrolled: 1-line block ×4, first 2 shown]
	s_waitcnt lgkmcnt(4)
	;;#ASMSTART
	v_dot2_f32_f16 v53, v57, v1, v53
	;;#ASMEND
	;;#ASMSTART
	v_dot2_f32_f16 v53, v58, v2, v53
	;;#ASMEND
	;; [unrolled: 3-line block ×4, first 2 shown]
	s_waitcnt lgkmcnt(0)
	;;#ASMSTART
	v_dot2_f32_f16 v14, v57, v73, v14
	;;#ASMEND
	;;#ASMSTART
	v_dot2_f32_f16 v14, v58, v74, v14
	;;#ASMEND
	;; [unrolled: 3-line block ×28, first 2 shown]
	ds_read_b128 v[1:4], v19 offset:1040
	ds_read_b128 v[57:60], v23 offset:16
	;; [unrolled: 1-line block ×6, first 2 shown]
	s_waitcnt lgkmcnt(4)
	;;#ASMSTART
	v_dot2_f32_f16 v53, v57, v1, v53
	;;#ASMEND
	;;#ASMSTART
	v_dot2_f32_f16 v53, v58, v2, v53
	;;#ASMEND
	;; [unrolled: 3-line block ×4, first 2 shown]
	s_waitcnt lgkmcnt(0)
	;;#ASMSTART
	v_dot2_f32_f16 v14, v57, v73, v14
	;;#ASMEND
	;;#ASMSTART
	v_dot2_f32_f16 v14, v58, v74, v14
	;;#ASMEND
	;; [unrolled: 3-line block ×28, first 2 shown]
	ds_read_b128 v[1:4], v19 offset:1056
	ds_read_b128 v[57:60], v23 offset:32
	;; [unrolled: 1-line block ×6, first 2 shown]
	s_waitcnt lgkmcnt(4)
	;;#ASMSTART
	v_dot2_f32_f16 v53, v57, v1, v53
	;;#ASMEND
	;;#ASMSTART
	v_dot2_f32_f16 v53, v58, v2, v53
	;;#ASMEND
	;; [unrolled: 3-line block ×4, first 2 shown]
	s_waitcnt lgkmcnt(0)
	;;#ASMSTART
	v_dot2_f32_f16 v14, v57, v73, v14
	;;#ASMEND
	;;#ASMSTART
	v_dot2_f32_f16 v14, v58, v74, v14
	;;#ASMEND
	;; [unrolled: 3-line block ×28, first 2 shown]
	ds_read_b128 v[1:4], v19 offset:1072
	ds_read_b128 v[57:60], v23 offset:48
	;; [unrolled: 1-line block ×6, first 2 shown]
	s_waitcnt lgkmcnt(4)
	;;#ASMSTART
	v_dot2_f32_f16 v53, v57, v1, v53
	;;#ASMEND
	;;#ASMSTART
	v_dot2_f32_f16 v53, v58, v2, v53
	;;#ASMEND
	;; [unrolled: 3-line block ×4, first 2 shown]
	s_waitcnt lgkmcnt(0)
	;;#ASMSTART
	v_dot2_f32_f16 v14, v57, v73, v14
	;;#ASMEND
	;;#ASMSTART
	v_dot2_f32_f16 v14, v58, v74, v14
	;;#ASMEND
	;; [unrolled: 3-line block ×28, first 2 shown]
	ds_read_b128 v[1:4], v19 offset:1088
	ds_read_b128 v[57:60], v23 offset:64
	;; [unrolled: 1-line block ×6, first 2 shown]
	s_waitcnt lgkmcnt(4)
	;;#ASMSTART
	v_dot2_f32_f16 v53, v57, v1, v53
	;;#ASMEND
	;;#ASMSTART
	v_dot2_f32_f16 v53, v58, v2, v53
	;;#ASMEND
	;; [unrolled: 3-line block ×4, first 2 shown]
	s_waitcnt lgkmcnt(0)
	;;#ASMSTART
	v_dot2_f32_f16 v14, v57, v73, v14
	;;#ASMEND
	;;#ASMSTART
	v_dot2_f32_f16 v14, v58, v74, v14
	;;#ASMEND
	;;#ASMSTART
	v_dot2_f32_f16 v14, v59, v75, v14
	;;#ASMEND
	;;#ASMSTART
	v_dot2_f32_f16 v14, v60, v76, v14
	;;#ASMEND
	;;#ASMSTART
	v_dot2_f32_f16 v54, v61, v1, v54
	;;#ASMEND
	;;#ASMSTART
	v_dot2_f32_f16 v54, v62, v2, v54
	;;#ASMEND
	;;#ASMSTART
	v_dot2_f32_f16 v54, v63, v3, v54
	;;#ASMEND
	;;#ASMSTART
	v_dot2_f32_f16 v54, v64, v4, v54
	;;#ASMEND
	;;#ASMSTART
	v_dot2_f32_f16 v15, v61, v73, v15
	;;#ASMEND
	;;#ASMSTART
	v_dot2_f32_f16 v15, v62, v74, v15
	;;#ASMEND
	;;#ASMSTART
	v_dot2_f32_f16 v15, v63, v75, v15
	;;#ASMEND
	;;#ASMSTART
	v_dot2_f32_f16 v15, v64, v76, v15
	;;#ASMEND
	;;#ASMSTART
	v_dot2_f32_f16 v55, v65, v1, v55
	;;#ASMEND
	;;#ASMSTART
	v_dot2_f32_f16 v55, v66, v2, v55
	;;#ASMEND
	;;#ASMSTART
	v_dot2_f32_f16 v55, v67, v3, v55
	;;#ASMEND
	;;#ASMSTART
	v_dot2_f32_f16 v55, v68, v4, v55
	;;#ASMEND
	;;#ASMSTART
	v_dot2_f32_f16 v51, v65, v73, v51
	;;#ASMEND
	;;#ASMSTART
	v_dot2_f32_f16 v51, v66, v74, v51
	;;#ASMEND
	;;#ASMSTART
	v_dot2_f32_f16 v51, v67, v75, v51
	;;#ASMEND
	;;#ASMSTART
	v_dot2_f32_f16 v51, v68, v76, v51
	;;#ASMEND
	;;#ASMSTART
	v_dot2_f32_f16 v56, v69, v1, v56
	;;#ASMEND
	;;#ASMSTART
	v_dot2_f32_f16 v56, v70, v2, v56
	;;#ASMEND
	;;#ASMSTART
	v_dot2_f32_f16 v56, v71, v3, v56
	;;#ASMEND
	;;#ASMSTART
	v_dot2_f32_f16 v56, v72, v4, v56
	;;#ASMEND
	;;#ASMSTART
	v_dot2_f32_f16 v52, v69, v73, v52
	;;#ASMEND
	;;#ASMSTART
	v_dot2_f32_f16 v52, v70, v74, v52
	;;#ASMEND
	;;#ASMSTART
	v_dot2_f32_f16 v52, v71, v75, v52
	;;#ASMEND
	;;#ASMSTART
	v_dot2_f32_f16 v52, v72, v76, v52
	;;#ASMEND
	ds_read_b128 v[1:4], v19 offset:1104
	ds_read_b128 v[57:60], v23 offset:80
	;; [unrolled: 1-line block ×6, first 2 shown]
	s_waitcnt lgkmcnt(4)
	;;#ASMSTART
	v_dot2_f32_f16 v53, v57, v1, v53
	;;#ASMEND
	;;#ASMSTART
	v_dot2_f32_f16 v53, v58, v2, v53
	;;#ASMEND
	;; [unrolled: 3-line block ×4, first 2 shown]
	s_waitcnt lgkmcnt(0)
	;;#ASMSTART
	v_dot2_f32_f16 v14, v57, v73, v14
	;;#ASMEND
	;;#ASMSTART
	v_dot2_f32_f16 v14, v58, v74, v14
	;;#ASMEND
	;; [unrolled: 3-line block ×28, first 2 shown]
	ds_read_b128 v[1:4], v19 offset:1120
	ds_read_b128 v[57:60], v23 offset:96
	;; [unrolled: 1-line block ×6, first 2 shown]
	s_waitcnt lgkmcnt(4)
	;;#ASMSTART
	v_dot2_f32_f16 v53, v57, v1, v53
	;;#ASMEND
	;;#ASMSTART
	v_dot2_f32_f16 v53, v58, v2, v53
	;;#ASMEND
	;; [unrolled: 3-line block ×4, first 2 shown]
	s_waitcnt lgkmcnt(0)
	;;#ASMSTART
	v_dot2_f32_f16 v14, v57, v73, v14
	;;#ASMEND
	;;#ASMSTART
	v_dot2_f32_f16 v14, v58, v74, v14
	;;#ASMEND
	;; [unrolled: 3-line block ×28, first 2 shown]
	ds_read_b128 v[1:4], v19 offset:1136
	ds_read_b128 v[57:60], v23 offset:112
	;; [unrolled: 1-line block ×6, first 2 shown]
	s_waitcnt lgkmcnt(4)
	;;#ASMSTART
	v_dot2_f32_f16 v53, v57, v1, v53
	;;#ASMEND
	;;#ASMSTART
	v_dot2_f32_f16 v53, v58, v2, v53
	;;#ASMEND
	;; [unrolled: 3-line block ×4, first 2 shown]
	s_waitcnt lgkmcnt(0)
	;;#ASMSTART
	v_dot2_f32_f16 v14, v57, v73, v14
	;;#ASMEND
	;;#ASMSTART
	v_dot2_f32_f16 v14, v58, v74, v14
	;;#ASMEND
	;; [unrolled: 3-line block ×27, first 2 shown]
	v_cmp_nlt_f32_e64 s[8:9], |v53|, s12
	;;#ASMSTART
	v_dot2_f32_f16 v52, v72, v76, v52
	;;#ASMEND
                                        ; implicit-def: $vgpr57
	s_and_saveexec_b64 s[34:35], s[8:9]
	s_xor_b64 s[8:9], exec, s[34:35]
	s_cbranch_execz .LBB25_18
; %bb.17:                               ;   in Loop: Header=BB25_16 Depth=1
	v_add_f32_e64 v1, |v53|, |v53|
	v_mul_f32_e32 v2, 0x3fb8aa3b, v1
	v_rndne_f32_e32 v3, v2
	v_sub_f32_e32 v4, v2, v3
	v_fma_f32 v2, v1, s13, -v2
	v_fmac_f32_e32 v2, 0x32a5705f, v1
	v_add_f32_e32 v2, v4, v2
	v_cvt_i32_f32_e32 v3, v3
	v_exp_f32_e32 v2, v2
	v_cmp_ngt_f32_e32 vcc, s19, v1
	v_ldexp_f32 v2, v2, v3
	v_cndmask_b32_e32 v2, 0, v2, vcc
	v_cmp_nlt_f32_e32 vcc, s24, v1
	v_cndmask_b32_e32 v1, v34, v2, vcc
	v_add_f32_e32 v1, 1.0, v1
	v_rcp_f32_e32 v1, v1
	v_fma_f32 v57, v1, -2.0, 1.0
.LBB25_18:                              ;   in Loop: Header=BB25_16 Depth=1
	s_andn2_saveexec_b64 s[8:9], s[8:9]
; %bb.19:                               ;   in Loop: Header=BB25_16 Depth=1
	v_mul_f32_e32 v1, v53, v53
	v_mov_b32_e32 v2, 0x3ca908c9
	v_fmac_f32_e32 v2, 0xbbbac73d, v1
	v_fma_f32 v2, v1, v2, v31
	v_fma_f32 v2, v1, v2, v32
	;; [unrolled: 1-line block ×3, first 2 shown]
	v_mul_f32_e64 v2, |v53|, v2
	v_fma_f32 v57, v1, v2, |v53|
; %bb.20:                               ;   in Loop: Header=BB25_16 Depth=1
	s_or_b64 exec, exec, s[8:9]
	v_add_u32_e32 v1, s6, v9
	v_ashrrev_i32_e32 v2, 31, v1
	v_lshlrev_b64 v[1:2], 1, v[1:2]
	v_mov_b32_e32 v3, s31
	v_add_co_u32_e32 v1, vcc, s30, v1
	v_addc_co_u32_e32 v2, vcc, v3, v2, vcc
	global_load_ushort v3, v[1:2], off
	v_cmp_nlt_f32_e64 s[8:9], |v54|, s12
                                        ; implicit-def: $vgpr58
	s_and_saveexec_b64 s[34:35], s[8:9]
	s_xor_b64 s[8:9], exec, s[34:35]
	s_cbranch_execz .LBB25_22
; %bb.21:                               ;   in Loop: Header=BB25_16 Depth=1
	v_add_f32_e64 v4, |v54|, |v54|
	v_mul_f32_e32 v58, 0x3fb8aa3b, v4
	v_rndne_f32_e32 v59, v58
	v_sub_f32_e32 v60, v58, v59
	v_fma_f32 v58, v4, s13, -v58
	v_fmac_f32_e32 v58, 0x32a5705f, v4
	v_add_f32_e32 v58, v60, v58
	v_cvt_i32_f32_e32 v59, v59
	v_exp_f32_e32 v58, v58
	v_cmp_ngt_f32_e32 vcc, s19, v4
	v_ldexp_f32 v58, v58, v59
	v_cndmask_b32_e32 v58, 0, v58, vcc
	v_cmp_nlt_f32_e32 vcc, s24, v4
	v_cndmask_b32_e32 v4, v34, v58, vcc
	v_add_f32_e32 v4, 1.0, v4
	v_rcp_f32_e32 v4, v4
	v_fma_f32 v58, v4, -2.0, 1.0
.LBB25_22:                              ;   in Loop: Header=BB25_16 Depth=1
	s_andn2_saveexec_b64 s[8:9], s[8:9]
; %bb.23:                               ;   in Loop: Header=BB25_16 Depth=1
	v_mul_f32_e32 v4, v54, v54
	v_mov_b32_e32 v58, 0x3ca908c9
	v_fmac_f32_e32 v58, 0xbbbac73d, v4
	v_fma_f32 v58, v4, v58, v31
	v_fma_f32 v58, v4, v58, v32
	;; [unrolled: 1-line block ×3, first 2 shown]
	v_mul_f32_e64 v58, |v54|, v58
	v_fma_f32 v58, v4, v58, |v54|
; %bb.24:                               ;   in Loop: Header=BB25_16 Depth=1
	s_or_b64 exec, exec, s[8:9]
	global_load_ushort v4, v[1:2], off offset:64
	v_cmp_nlt_f32_e64 s[8:9], |v55|, s12
                                        ; implicit-def: $vgpr62
	s_and_saveexec_b64 s[34:35], s[8:9]
	s_xor_b64 s[8:9], exec, s[34:35]
	s_cbranch_execz .LBB25_26
; %bb.25:                               ;   in Loop: Header=BB25_16 Depth=1
	v_add_f32_e64 v59, |v55|, |v55|
	v_mul_f32_e32 v60, 0x3fb8aa3b, v59
	v_rndne_f32_e32 v61, v60
	v_sub_f32_e32 v62, v60, v61
	v_fma_f32 v60, v59, s13, -v60
	v_fmac_f32_e32 v60, 0x32a5705f, v59
	v_add_f32_e32 v60, v62, v60
	v_cvt_i32_f32_e32 v61, v61
	v_exp_f32_e32 v60, v60
	v_cmp_ngt_f32_e32 vcc, s19, v59
	v_ldexp_f32 v60, v60, v61
	v_cndmask_b32_e32 v60, 0, v60, vcc
	v_cmp_nlt_f32_e32 vcc, s24, v59
	v_cndmask_b32_e32 v59, v34, v60, vcc
	v_add_f32_e32 v59, 1.0, v59
	v_rcp_f32_e32 v59, v59
	v_fma_f32 v62, v59, -2.0, 1.0
.LBB25_26:                              ;   in Loop: Header=BB25_16 Depth=1
	s_andn2_saveexec_b64 s[8:9], s[8:9]
; %bb.27:                               ;   in Loop: Header=BB25_16 Depth=1
	v_mul_f32_e32 v59, v55, v55
	v_mov_b32_e32 v60, 0x3ca908c9
	v_fmac_f32_e32 v60, 0xbbbac73d, v59
	v_fma_f32 v60, v59, v60, v31
	v_fma_f32 v60, v59, v60, v32
	;; [unrolled: 1-line block ×3, first 2 shown]
	v_mul_f32_e64 v60, |v55|, v60
	v_fma_f32 v62, v59, v60, |v55|
; %bb.28:                               ;   in Loop: Header=BB25_16 Depth=1
	s_or_b64 exec, exec, s[8:9]
	global_load_ushort v59, v[1:2], off offset:128
	v_cmp_nlt_f32_e64 s[8:9], |v56|, s12
                                        ; implicit-def: $vgpr63
	s_and_saveexec_b64 s[34:35], s[8:9]
	s_xor_b64 s[8:9], exec, s[34:35]
	s_cbranch_execz .LBB25_30
; %bb.29:                               ;   in Loop: Header=BB25_16 Depth=1
	v_add_f32_e64 v60, |v56|, |v56|
	v_mul_f32_e32 v61, 0x3fb8aa3b, v60
	v_rndne_f32_e32 v63, v61
	v_sub_f32_e32 v64, v61, v63
	v_fma_f32 v61, v60, s13, -v61
	v_fmac_f32_e32 v61, 0x32a5705f, v60
	v_add_f32_e32 v61, v64, v61
	v_cvt_i32_f32_e32 v63, v63
	v_exp_f32_e32 v61, v61
	v_cmp_ngt_f32_e32 vcc, s19, v60
	v_ldexp_f32 v61, v61, v63
	v_cndmask_b32_e32 v61, 0, v61, vcc
	v_cmp_nlt_f32_e32 vcc, s24, v60
	v_cndmask_b32_e32 v60, v34, v61, vcc
	v_add_f32_e32 v60, 1.0, v60
	v_rcp_f32_e32 v60, v60
	v_fma_f32 v63, v60, -2.0, 1.0
.LBB25_30:                              ;   in Loop: Header=BB25_16 Depth=1
	s_andn2_saveexec_b64 s[8:9], s[8:9]
; %bb.31:                               ;   in Loop: Header=BB25_16 Depth=1
	v_mul_f32_e32 v60, v56, v56
	v_mov_b32_e32 v61, 0x3ca908c9
	v_fmac_f32_e32 v61, 0xbbbac73d, v60
	v_fma_f32 v61, v60, v61, v31
	v_fma_f32 v61, v60, v61, v32
	;; [unrolled: 1-line block ×3, first 2 shown]
	v_mul_f32_e64 v61, |v56|, v61
	v_fma_f32 v63, v60, v61, |v56|
; %bb.32:                               ;   in Loop: Header=BB25_16 Depth=1
	s_or_b64 exec, exec, s[8:9]
	global_load_ushort v65, v[1:2], off offset:192
	v_bfi_b32 v1, s25, v57, v53
	v_bfi_b32 v2, s25, v58, v54
	s_waitcnt vmcnt(3)
	v_fma_mix_f32 v61, s14, v1, v3 op_sel_hi:[0,0,1]
	s_waitcnt vmcnt(2)
	v_fma_mix_f32 v60, s14, v2, v4 op_sel_hi:[0,0,1]
	v_add_f32_e32 v1, 0x40051340, v61
	v_add_f32_e32 v2, 0x40051340, v60
	v_max3_f32 v54, v50, v1, v2
	v_bfi_b32 v1, s25, v62, v55
	s_waitcnt vmcnt(1)
	v_fma_mix_f32 v2, s14, v1, v59 op_sel_hi:[0,0,1]
	v_and_b32_e32 v1, 0x60, v20
	v_add_u32_e32 v53, 32, v1
	v_xor_b32_e32 v58, 16, v20
	v_cmp_lt_i32_e32 vcc, v58, v53
	v_cndmask_b32_e32 v1, v20, v58, vcc
	v_lshlrev_b32_e32 v62, 2, v1
	v_bfi_b32 v1, s25, v63, v56
	v_add_f32_e32 v55, 0x40051340, v2
	v_cmp_nlt_f32_e64 s[8:9], |v14|, s12
                                        ; implicit-def: $vgpr70
	s_waitcnt vmcnt(0)
	v_fma_mix_f32 v1, s14, v1, v65 op_sel_hi:[0,0,1]
	v_add_f32_e32 v56, 0x40051340, v1
	v_max3_f32 v55, v54, v55, v56
	ds_bpermute_b32 v56, v62, v55
	v_xor_b32_e32 v54, 8, v20
	v_cmp_lt_i32_e32 vcc, v54, v53
	v_cndmask_b32_e32 v57, v20, v54, vcc
	v_lshlrev_b32_e32 v64, 2, v57
	s_waitcnt lgkmcnt(0)
	v_max_f32_e32 v56, v56, v56
	v_max_f32_e32 v56, v55, v56
	ds_bpermute_b32 v57, v64, v56
	v_xor_b32_e32 v55, 4, v20
	v_cmp_lt_i32_e32 vcc, v55, v53
	v_cndmask_b32_e32 v63, v20, v55, vcc
	v_lshlrev_b32_e32 v66, 2, v63
	s_waitcnt lgkmcnt(0)
	v_max_f32_e32 v57, v57, v57
	v_max_f32_e32 v57, v56, v57
	ds_bpermute_b32 v63, v66, v57
	v_xor_b32_e32 v56, 2, v20
	v_cmp_lt_i32_e32 vcc, v56, v53
	v_cndmask_b32_e32 v67, v20, v56, vcc
	v_lshlrev_b32_e32 v67, 2, v67
	s_waitcnt lgkmcnt(0)
	v_max_f32_e32 v63, v63, v63
	v_max_f32_e32 v68, v57, v63
	ds_bpermute_b32 v69, v67, v68
	v_xor_b32_e32 v57, 1, v20
	v_cmp_lt_i32_e32 vcc, v57, v53
	v_cndmask_b32_e32 v63, v20, v57, vcc
	v_lshlrev_b32_e32 v63, 2, v63
	s_waitcnt lgkmcnt(0)
	v_max_f32_e32 v69, v69, v69
	v_max_f32_e32 v68, v68, v69
	ds_bpermute_b32 v69, v63, v68
	s_and_saveexec_b64 s[34:35], s[8:9]
	s_xor_b64 s[8:9], exec, s[34:35]
	s_cbranch_execz .LBB25_34
; %bb.33:                               ;   in Loop: Header=BB25_16 Depth=1
	v_add_f32_e64 v70, |v14|, |v14|
	v_mul_f32_e32 v71, 0x3fb8aa3b, v70
	v_rndne_f32_e32 v72, v71
	v_sub_f32_e32 v73, v71, v72
	v_fma_f32 v71, v70, s13, -v71
	v_fmac_f32_e32 v71, 0x32a5705f, v70
	v_add_f32_e32 v71, v73, v71
	v_cvt_i32_f32_e32 v72, v72
	v_exp_f32_e32 v71, v71
	v_cmp_ngt_f32_e32 vcc, s19, v70
	v_ldexp_f32 v71, v71, v72
	v_cndmask_b32_e32 v71, 0, v71, vcc
	v_cmp_nlt_f32_e32 vcc, s24, v70
	v_cndmask_b32_e32 v70, v34, v71, vcc
	v_add_f32_e32 v70, 1.0, v70
	v_rcp_f32_e32 v70, v70
	v_fma_f32 v70, v70, -2.0, 1.0
.LBB25_34:                              ;   in Loop: Header=BB25_16 Depth=1
	s_andn2_saveexec_b64 s[8:9], s[8:9]
; %bb.35:                               ;   in Loop: Header=BB25_16 Depth=1
	v_mul_f32_e32 v70, v14, v14
	v_mov_b32_e32 v71, 0x3ca908c9
	v_fmac_f32_e32 v71, 0xbbbac73d, v70
	v_fma_f32 v71, v70, v71, v31
	v_fma_f32 v71, v70, v71, v32
	;; [unrolled: 1-line block ×3, first 2 shown]
	v_mul_f32_e64 v71, |v14|, v71
	v_fma_f32 v70, v70, v71, |v14|
; %bb.36:                               ;   in Loop: Header=BB25_16 Depth=1
	s_or_b64 exec, exec, s[8:9]
	v_cmp_nlt_f32_e64 s[8:9], |v15|, s12
                                        ; implicit-def: $vgpr71
	s_and_saveexec_b64 s[34:35], s[8:9]
	s_xor_b64 s[8:9], exec, s[34:35]
	s_cbranch_execz .LBB25_38
; %bb.37:                               ;   in Loop: Header=BB25_16 Depth=1
	v_add_f32_e64 v71, |v15|, |v15|
	v_mul_f32_e32 v72, 0x3fb8aa3b, v71
	v_rndne_f32_e32 v73, v72
	v_sub_f32_e32 v74, v72, v73
	v_fma_f32 v72, v71, s13, -v72
	v_fmac_f32_e32 v72, 0x32a5705f, v71
	v_add_f32_e32 v72, v74, v72
	v_cvt_i32_f32_e32 v73, v73
	v_exp_f32_e32 v72, v72
	v_cmp_ngt_f32_e32 vcc, s19, v71
	v_ldexp_f32 v72, v72, v73
	v_cndmask_b32_e32 v72, 0, v72, vcc
	v_cmp_nlt_f32_e32 vcc, s24, v71
	v_cndmask_b32_e32 v71, v34, v72, vcc
	v_add_f32_e32 v71, 1.0, v71
	v_rcp_f32_e32 v71, v71
	v_fma_f32 v71, v71, -2.0, 1.0
.LBB25_38:                              ;   in Loop: Header=BB25_16 Depth=1
	s_andn2_saveexec_b64 s[8:9], s[8:9]
; %bb.39:                               ;   in Loop: Header=BB25_16 Depth=1
	v_mul_f32_e32 v71, v15, v15
	v_mov_b32_e32 v72, 0x3ca908c9
	v_fmac_f32_e32 v72, 0xbbbac73d, v71
	v_fma_f32 v72, v71, v72, v31
	v_fma_f32 v72, v71, v72, v32
	;; [unrolled: 1-line block ×3, first 2 shown]
	v_mul_f32_e64 v72, |v15|, v72
	v_fma_f32 v71, v71, v72, |v15|
; %bb.40:                               ;   in Loop: Header=BB25_16 Depth=1
	s_or_b64 exec, exec, s[8:9]
	v_cmp_nlt_f32_e64 s[8:9], |v51|, s12
                                        ; implicit-def: $vgpr72
	s_and_saveexec_b64 s[34:35], s[8:9]
	s_xor_b64 s[8:9], exec, s[34:35]
	s_cbranch_execz .LBB25_42
; %bb.41:                               ;   in Loop: Header=BB25_16 Depth=1
	v_add_f32_e64 v72, |v51|, |v51|
	v_mul_f32_e32 v73, 0x3fb8aa3b, v72
	v_rndne_f32_e32 v74, v73
	v_sub_f32_e32 v75, v73, v74
	v_fma_f32 v73, v72, s13, -v73
	v_fmac_f32_e32 v73, 0x32a5705f, v72
	v_add_f32_e32 v73, v75, v73
	v_cvt_i32_f32_e32 v74, v74
	v_exp_f32_e32 v73, v73
	v_cmp_ngt_f32_e32 vcc, s19, v72
	v_ldexp_f32 v73, v73, v74
	v_cndmask_b32_e32 v73, 0, v73, vcc
	v_cmp_nlt_f32_e32 vcc, s24, v72
	v_cndmask_b32_e32 v72, v34, v73, vcc
	v_add_f32_e32 v72, 1.0, v72
	v_rcp_f32_e32 v72, v72
	v_fma_f32 v72, v72, -2.0, 1.0
.LBB25_42:                              ;   in Loop: Header=BB25_16 Depth=1
	s_andn2_saveexec_b64 s[8:9], s[8:9]
; %bb.43:                               ;   in Loop: Header=BB25_16 Depth=1
	v_mul_f32_e32 v72, v51, v51
	v_mov_b32_e32 v73, 0x3ca908c9
	v_fmac_f32_e32 v73, 0xbbbac73d, v72
	v_fma_f32 v73, v72, v73, v31
	v_fma_f32 v73, v72, v73, v32
	;; [unrolled: 1-line block ×3, first 2 shown]
	v_mul_f32_e64 v73, |v51|, v73
	v_fma_f32 v72, v72, v73, |v51|
; %bb.44:                               ;   in Loop: Header=BB25_16 Depth=1
	s_or_b64 exec, exec, s[8:9]
	v_cmp_nlt_f32_e64 s[8:9], |v52|, s12
                                        ; implicit-def: $vgpr73
	s_and_saveexec_b64 s[34:35], s[8:9]
	s_xor_b64 s[8:9], exec, s[34:35]
	s_cbranch_execz .LBB25_46
; %bb.45:                               ;   in Loop: Header=BB25_16 Depth=1
	v_add_f32_e64 v73, |v52|, |v52|
	v_mul_f32_e32 v74, 0x3fb8aa3b, v73
	v_rndne_f32_e32 v75, v74
	v_sub_f32_e32 v76, v74, v75
	v_fma_f32 v74, v73, s13, -v74
	v_fmac_f32_e32 v74, 0x32a5705f, v73
	v_add_f32_e32 v74, v76, v74
	v_cvt_i32_f32_e32 v75, v75
	v_exp_f32_e32 v74, v74
	v_cmp_ngt_f32_e32 vcc, s19, v73
	v_ldexp_f32 v74, v74, v75
	v_cndmask_b32_e32 v74, 0, v74, vcc
	v_cmp_nlt_f32_e32 vcc, s24, v73
	v_cndmask_b32_e32 v73, v34, v74, vcc
	v_add_f32_e32 v73, 1.0, v73
	v_rcp_f32_e32 v73, v73
	v_fma_f32 v73, v73, -2.0, 1.0
.LBB25_46:                              ;   in Loop: Header=BB25_16 Depth=1
	s_andn2_saveexec_b64 s[8:9], s[8:9]
; %bb.47:                               ;   in Loop: Header=BB25_16 Depth=1
	v_mul_f32_e32 v73, v52, v52
	v_mov_b32_e32 v74, 0x3ca908c9
	v_fmac_f32_e32 v74, 0xbbbac73d, v73
	v_fma_f32 v74, v73, v74, v31
	v_fma_f32 v74, v73, v74, v32
	;; [unrolled: 1-line block ×3, first 2 shown]
	v_mul_f32_e64 v74, |v52|, v74
	v_fma_f32 v73, v73, v74, |v52|
; %bb.48:                               ;   in Loop: Header=BB25_16 Depth=1
	s_or_b64 exec, exec, s[8:9]
	v_cvt_f32_f16_e32 v74, v3
	v_cvt_f32_f16_e32 v75, v4
	;; [unrolled: 1-line block ×4, first 2 shown]
	v_bfi_b32 v14, s25, v70, v14
	v_bfi_b32 v15, s25, v71, v15
	v_fmac_f32_e32 v74, s14, v14
	v_fmac_f32_e32 v75, s14, v15
	v_add_f32_e32 v14, 0x40051340, v74
	v_add_f32_e32 v15, 0x40051340, v75
	v_max3_f32 v14, v48, v14, v15
	v_bfi_b32 v15, s25, v72, v51
	v_bfi_b32 v51, s25, v73, v52
	v_fmac_f32_e32 v4, s14, v15
	v_fmac_f32_e32 v3, s14, v51
	v_add_f32_e32 v15, 0x40051340, v4
	v_add_f32_e32 v51, 0x40051340, v3
	v_max3_f32 v14, v14, v15, v51
	ds_bpermute_b32 v15, v62, v14
	s_waitcnt lgkmcnt(1)
	v_max_f32_e32 v51, v69, v69
	v_max_f32_e32 v52, v68, v68
	s_mul_hi_i32 s9, s6, s15
	s_mul_i32 s8, s6, s15
	s_waitcnt lgkmcnt(0)
	v_max_f32_e32 v15, v15, v15
	v_max_f32_e32 v14, v14, v15
	ds_bpermute_b32 v15, v64, v14
	s_lshl_b64 s[8:9], s[8:9], 2
	s_waitcnt lgkmcnt(0)
	s_barrier
	v_max_f32_e32 v15, v15, v15
	v_max_f32_e32 v14, v14, v15
	ds_bpermute_b32 v15, v66, v14
	s_waitcnt lgkmcnt(0)
	v_max_f32_e32 v15, v15, v15
	v_max_f32_e32 v15, v14, v15
	ds_bpermute_b32 v59, v67, v15
	v_max_f32_e32 v14, v52, v51
	v_sub_f32_e32 v51, v61, v14
	v_mul_f32_e32 v52, 0x3fb8aa3b, v51
	v_fma_f32 v61, v51, s13, -v52
	s_waitcnt lgkmcnt(0)
	v_max_f32_e32 v59, v59, v59
	v_max_f32_e32 v15, v15, v59
	ds_bpermute_b32 v59, v63, v15
	v_rndne_f32_e32 v62, v52
	v_fmac_f32_e32 v61, 0x32a5705f, v51
	v_sub_f32_e32 v52, v52, v62
	v_add_f32_e32 v52, v52, v61
	s_waitcnt lgkmcnt(0)
	v_max_f32_e32 v59, v59, v59
	v_max_f32_e32 v15, v15, v59
	v_exp_f32_e32 v52, v52
	v_cvt_i32_f32_e32 v59, v62
	v_sub_f32_e32 v61, v50, v14
	v_sub_f32_e32 v2, v2, v14
	v_cmp_ngt_f32_e32 vcc, s19, v51
	v_ldexp_f32 v50, v52, v59
	v_sub_f32_e32 v52, v60, v14
	v_mul_f32_e32 v59, 0x3fb8aa3b, v52
	v_fma_f32 v60, v52, s13, -v59
	v_rndne_f32_e32 v62, v59
	v_fmac_f32_e32 v60, 0x32a5705f, v52
	v_sub_f32_e32 v59, v59, v62
	v_add_f32_e32 v59, v59, v60
	v_exp_f32_e32 v59, v59
	v_cvt_i32_f32_e32 v60, v62
	v_cndmask_b32_e32 v50, 0, v50, vcc
	v_cmp_nlt_f32_e32 vcc, s24, v51
	v_cndmask_b32_e32 v51, v34, v50, vcc
	v_ldexp_f32 v59, v59, v60
	v_mul_f32_e32 v60, 0x3fb8aa3b, v2
	v_fma_f32 v62, v2, s13, -v60
	v_rndne_f32_e32 v63, v60
	v_fmac_f32_e32 v62, 0x32a5705f, v2
	v_sub_f32_e32 v60, v60, v63
	v_add_f32_e32 v60, v60, v62
	v_exp_f32_e32 v60, v60
	v_cvt_i32_f32_e32 v62, v63
	v_cmp_ngt_f32_e32 vcc, s19, v52
	v_cndmask_b32_e32 v59, 0, v59, vcc
	v_cmp_nlt_f32_e32 vcc, s24, v52
	v_sub_f32_e32 v1, v1, v14
	v_cndmask_b32_e32 v52, v34, v59, vcc
	v_mul_f32_e32 v59, 0x3fb8aa3b, v1
	v_cvt_f16_f32_e32 v50, v51
	v_add_f32_e32 v51, v51, v52
	v_cvt_f16_f32_e32 v63, v52
	v_ldexp_f32 v52, v60, v62
	v_fma_f32 v60, v1, s13, -v59
	v_rndne_f32_e32 v62, v59
	v_fmac_f32_e32 v60, 0x32a5705f, v1
	v_sub_f32_e32 v59, v59, v62
	v_add_f32_e32 v59, v59, v60
	v_exp_f32_e32 v59, v59
	v_cvt_i32_f32_e32 v60, v62
	v_cmp_ngt_f32_e32 vcc, s19, v2
	v_cndmask_b32_e32 v52, 0, v52, vcc
	v_cmp_nlt_f32_e32 vcc, s24, v2
	v_cndmask_b32_e32 v2, v34, v52, vcc
	v_mul_f32_e32 v52, 0x3fb8aa3b, v61
	v_add_f32_e32 v51, v2, v51
	v_cvt_f16_f32_e32 v64, v2
	v_ldexp_f32 v2, v59, v60
	v_fma_f32 v59, v61, s13, -v52
	v_rndne_f32_e32 v60, v52
	v_fmac_f32_e32 v59, 0x32a5705f, v61
	v_sub_f32_e32 v52, v52, v60
	v_add_f32_e32 v52, v52, v59
	v_exp_f32_e32 v52, v52
	v_cvt_i32_f32_e32 v59, v60
	v_cmp_ngt_f32_e32 vcc, s19, v1
	v_cndmask_b32_e32 v2, 0, v2, vcc
	v_cmp_nlt_f32_e32 vcc, s24, v1
	v_cndmask_b32_e32 v1, v34, v2, vcc
	v_ldexp_f32 v2, v52, v59
	v_cmp_ngt_f32_e32 vcc, s19, v61
	v_cndmask_b32_e32 v2, 0, v2, vcc
	v_cmp_nlt_f32_e32 vcc, s24, v61
	v_cndmask_b32_e32 v2, v34, v2, vcc
	v_cvt_f16_f32_e32 v52, v2
	v_add_f32_e32 v51, v1, v51
	v_fmac_f32_e32 v51, v49, v2
	v_cvt_f16_f32_e32 v65, v1
	v_mul_u32_u24_e32 v49, 0x10001, v52
	v_pk_mul_f16 v68, v44, v49
	v_sub_f32_e32 v44, v74, v15
	v_mul_f32_e32 v1, 0x3fb8aa3b, v44
	v_pk_mul_f16 v70, v42, v49
	v_fma_f32 v2, v44, s13, -v1
	v_rndne_f32_e32 v42, v1
	v_fmac_f32_e32 v2, 0x32a5705f, v44
	v_sub_f32_e32 v1, v1, v42
	v_add_f32_e32 v1, v1, v2
	v_exp_f32_e32 v1, v1
	v_cvt_i32_f32_e32 v2, v42
	v_cmp_ngt_f32_e32 vcc, s19, v44
	v_pk_mul_f16 v67, v46, v49
	v_pk_mul_f16 v71, v43, v49
	v_ldexp_f32 v1, v1, v2
	v_cndmask_b32_e32 v46, 0, v1, vcc
	v_mov_b32_e32 v2, s9
	v_add_co_u32_e32 v1, vcc, s8, v28
	v_addc_co_u32_e32 v2, vcc, v29, v2, vcc
	v_pk_mul_f16 v72, v40, v49
	v_pk_mul_f16 v73, v41, v49
	global_load_dwordx4 v[40:43], v[1:2], off
	global_load_dwordx4 v[59:62], v[1:2], off offset:512
	v_pk_mul_f16 v69, v45, v49
	v_sub_f32_e32 v45, v48, v15
	v_sub_f32_e32 v48, v75, v15
	v_mul_f32_e32 v52, 0x3fb8aa3b, v48
	v_fma_f32 v66, v48, s13, -v52
	v_rndne_f32_e32 v1, v52
	v_fmac_f32_e32 v66, 0x32a5705f, v48
	v_sub_f32_e32 v2, v52, v1
	v_add_f32_e32 v2, v2, v66
	v_exp_f32_e32 v2, v2
	v_cvt_i32_f32_e32 v1, v1
	v_cmp_nlt_f32_e32 vcc, s24, v44
	v_cndmask_b32_e32 v44, v34, v46, vcc
	v_cmp_ngt_f32_e32 vcc, s19, v48
	v_ldexp_f32 v1, v2, v1
	v_sub_f32_e32 v2, v4, v15
	v_mul_f32_e32 v4, 0x3fb8aa3b, v2
	v_fma_f32 v52, v2, s13, -v4
	v_rndne_f32_e32 v66, v4
	v_fmac_f32_e32 v52, 0x32a5705f, v2
	v_sub_f32_e32 v4, v4, v66
	v_add_f32_e32 v4, v4, v52
	v_exp_f32_e32 v4, v4
	v_cvt_i32_f32_e32 v52, v66
	v_sub_f32_e32 v3, v3, v15
	v_cndmask_b32_e32 v1, 0, v1, vcc
	v_cmp_nlt_f32_e32 vcc, s24, v48
	v_mul_f32_e32 v48, 0x3fb8aa3b, v3
	v_ldexp_f32 v4, v4, v52
	v_fma_f32 v52, v3, s13, -v48
	v_rndne_f32_e32 v66, v48
	v_fmac_f32_e32 v52, 0x32a5705f, v3
	v_sub_f32_e32 v48, v48, v66
	v_add_f32_e32 v48, v48, v52
	v_exp_f32_e32 v48, v48
	v_cvt_i32_f32_e32 v52, v66
	v_cndmask_b32_e32 v1, v34, v1, vcc
	v_cmp_ngt_f32_e32 vcc, s19, v2
	v_cndmask_b32_e32 v4, 0, v4, vcc
	v_cmp_nlt_f32_e32 vcc, s24, v2
	v_cvt_f16_f32_e32 v46, v44
	v_add_f32_e32 v44, v44, v1
	v_cndmask_b32_e32 v2, v34, v4, vcc
	v_add_f32_e32 v4, v2, v44
	v_ldexp_f32 v44, v48, v52
	v_mul_f32_e32 v48, 0x3fb8aa3b, v45
	v_fma_f32 v52, v45, s13, -v48
	v_rndne_f32_e32 v66, v48
	v_fmac_f32_e32 v52, 0x32a5705f, v45
	v_sub_f32_e32 v48, v48, v66
	v_add_f32_e32 v48, v48, v52
	v_exp_f32_e32 v48, v48
	v_cvt_i32_f32_e32 v52, v66
	v_cmp_ngt_f32_e32 vcc, s19, v3
	v_cndmask_b32_e32 v44, 0, v44, vcc
	v_cmp_nlt_f32_e32 vcc, s24, v3
	v_cndmask_b32_e32 v3, v34, v44, vcc
	v_ldexp_f32 v44, v48, v52
	v_cmp_ngt_f32_e32 vcc, s19, v45
	v_cndmask_b32_e32 v44, 0, v44, vcc
	v_cmp_nlt_f32_e32 vcc, s24, v45
	v_cndmask_b32_e32 v44, v34, v44, vcc
	v_cvt_f16_f32_e32 v45, v44
	v_cvt_f16_f32_e32 v1, v1
	;; [unrolled: 1-line block ×3, first 2 shown]
	v_add_f32_e32 v52, v3, v4
	v_cvt_f16_f32_e32 v3, v3
	v_mul_u32_u24_e32 v48, 0x10001, v45
	v_pk_mul_f16 v77, v5, v48
	v_add_u32_e32 v4, v24, v18
	v_pack_b32_f16 v5, v50, v46
	v_pack_b32_f16 v1, v63, v1
	ds_write2_b32 v4, v5, v1 offset1:32
	v_pack_b32_f16 v1, v64, v2
	v_pack_b32_f16 v2, v65, v3
	v_fmac_f32_e32 v52, v47, v44
	v_pk_mul_f16 v74, v7, v48
	v_pk_mul_f16 v75, v8, v48
	;; [unrolled: 1-line block ×3, first 2 shown]
	ds_write2_b32 v4, v1, v2 offset0:64 offset1:96
	s_waitcnt vmcnt(1)
	ds_write_b128 v25, v[40:43]
	s_waitcnt vmcnt(0)
	ds_write_b128 v26, v[59:62]
	s_waitcnt lgkmcnt(0)
	s_barrier
	ds_read2_b64 v[40:43], v27 offset1:32
	ds_read_b128 v[44:47], v24
	ds_read2_b64 v[59:62], v27 offset0:64 offset1:96
	ds_read_b128 v[63:66], v24 offset:16
	ds_read_b128 v[5:8], v24 offset:32
	ds_read_b128 v[1:4], v24 offset:48
	s_waitcnt lgkmcnt(4)
	v_mul_u32_u24_sdwa v50, v44, s26 dst_sel:DWORD dst_unused:UNUSED_PAD src0_sel:WORD_0 src1_sel:DWORD
	v_mul_u32_u24_sdwa v44, v44, s26 dst_sel:DWORD dst_unused:UNUSED_PAD src0_sel:WORD_1 src1_sel:DWORD
	v_pk_mul_f16 v78, v40, v50
	v_pk_mul_f16 v38, v38, v48
	;; [unrolled: 1-line block ×4, first 2 shown]
	v_pk_fma_f16 v49, v39, v49, v78
	v_pk_mul_f16 v39, v40, v44
	v_pk_fma_f16 v48, v35, v48, v39
	v_pk_fma_f16 v78, v41, v44, v38
	;; [unrolled: 1-line block ×5, first 2 shown]
	ds_read2_b64 v[35:38], v27 offset0:128 offset1:160
	v_pk_fma_f16 v67, v41, v50, v67
	v_pk_fma_f16 v68, v42, v50, v68
	ds_read2_b64 v[39:42], v27 offset0:192 offset1:224
	s_waitcnt lgkmcnt(5)
	v_pk_fma_f16 v70, v59, v50, v70
	v_pk_fma_f16 v59, v59, v44, v74
	;; [unrolled: 1-line block ×8, first 2 shown]
	v_mul_u32_u24_sdwa v62, v45, s26 dst_sel:DWORD dst_unused:UNUSED_PAD src0_sel:WORD_0 src1_sel:DWORD
	v_mul_u32_u24_sdwa v45, v45, s26 dst_sel:DWORD dst_unused:UNUSED_PAD src0_sel:WORD_1 src1_sel:DWORD
	s_waitcnt lgkmcnt(1)
	v_pk_fma_f16 v49, v35, v62, v49
	v_pk_fma_f16 v48, v35, v45, v48
	v_add_u32_e32 v35, 0x800, v27
	v_pk_fma_f16 v67, v36, v62, v67
	v_pk_fma_f16 v73, v36, v45, v78
	v_pk_fma_f16 v68, v37, v62, v68
	v_pk_fma_f16 v74, v37, v45, v79
	v_pk_fma_f16 v69, v38, v62, v69
	v_pk_fma_f16 v75, v38, v45, v43
	s_waitcnt lgkmcnt(0)
	v_pk_fma_f16 v70, v39, v62, v70
	v_pk_fma_f16 v59, v39, v45, v59
	ds_read2_b64 v[36:39], v35 offset1:32
	v_pk_fma_f16 v71, v40, v62, v71
	v_pk_fma_f16 v60, v40, v45, v60
	v_pk_fma_f16 v72, v41, v62, v72
	v_pk_fma_f16 v61, v41, v45, v61
	v_pk_fma_f16 v50, v42, v62, v50
	v_pk_fma_f16 v44, v42, v45, v44
	ds_read2_b64 v[40:43], v35 offset0:64 offset1:96
	v_mul_u32_u24_sdwa v45, v46, s26 dst_sel:DWORD dst_unused:UNUSED_PAD src0_sel:WORD_0 src1_sel:DWORD
	v_mul_u32_u24_sdwa v46, v46, s26 dst_sel:DWORD dst_unused:UNUSED_PAD src0_sel:WORD_1 src1_sel:DWORD
	s_waitcnt lgkmcnt(1)
	v_pk_fma_f16 v49, v36, v45, v49
	v_pk_fma_f16 v48, v36, v46, v48
	v_pk_fma_f16 v62, v37, v45, v67
	v_pk_fma_f16 v67, v37, v46, v73
	v_pk_fma_f16 v68, v38, v45, v68
	v_pk_fma_f16 v73, v38, v46, v74
	v_pk_fma_f16 v69, v39, v45, v69
	v_pk_fma_f16 v74, v39, v46, v75
	ds_read2_b64 v[36:39], v35 offset0:128 offset1:160
	s_waitcnt lgkmcnt(1)
	v_pk_fma_f16 v70, v40, v45, v70
	v_pk_fma_f16 v59, v40, v46, v59
	v_pk_fma_f16 v71, v41, v45, v71
	v_pk_fma_f16 v60, v41, v46, v60
	v_pk_fma_f16 v72, v42, v45, v72
	v_pk_fma_f16 v61, v42, v46, v61
	v_pk_fma_f16 v45, v43, v45, v50
	v_pk_fma_f16 v44, v43, v46, v44
	ds_read2_b64 v[40:43], v35 offset0:192 offset1:224
	v_mul_u32_u24_sdwa v46, v47, s26 dst_sel:DWORD dst_unused:UNUSED_PAD src0_sel:WORD_0 src1_sel:DWORD
	v_mul_u32_u24_sdwa v47, v47, s26 dst_sel:DWORD dst_unused:UNUSED_PAD src0_sel:WORD_1 src1_sel:DWORD
	s_waitcnt lgkmcnt(1)
	v_pk_fma_f16 v49, v36, v46, v49
	v_pk_fma_f16 v48, v36, v47, v48
	v_add_u32_e32 v36, 0x1000, v27
	v_pk_fma_f16 v50, v37, v46, v62
	v_pk_fma_f16 v62, v37, v47, v67
	v_pk_fma_f16 v67, v38, v46, v68
	v_pk_fma_f16 v68, v38, v47, v73
	v_pk_fma_f16 v69, v39, v46, v69
	v_pk_fma_f16 v73, v39, v47, v74
	s_waitcnt lgkmcnt(0)
	v_pk_fma_f16 v70, v40, v46, v70
	v_pk_fma_f16 v59, v40, v47, v59
	ds_read2_b64 v[37:40], v36 offset1:32
	v_pk_fma_f16 v71, v41, v46, v71
	v_pk_fma_f16 v60, v41, v47, v60
	v_pk_fma_f16 v72, v42, v46, v72
	v_pk_fma_f16 v61, v42, v47, v61
	v_pk_fma_f16 v45, v43, v46, v45
	v_pk_fma_f16 v46, v43, v47, v44
	ds_read2_b64 v[41:44], v36 offset0:64 offset1:96
	v_mul_u32_u24_sdwa v47, v63, s26 dst_sel:DWORD dst_unused:UNUSED_PAD src0_sel:WORD_0 src1_sel:DWORD
	v_mul_u32_u24_sdwa v63, v63, s26 dst_sel:DWORD dst_unused:UNUSED_PAD src0_sel:WORD_1 src1_sel:DWORD
	s_waitcnt lgkmcnt(1)
	v_pk_fma_f16 v49, v37, v47, v49
	v_pk_fma_f16 v48, v37, v63, v48
	v_pk_fma_f16 v50, v38, v47, v50
	v_pk_fma_f16 v62, v38, v63, v62
	v_pk_fma_f16 v67, v39, v47, v67
	v_pk_fma_f16 v68, v39, v63, v68
	v_pk_fma_f16 v69, v40, v47, v69
	v_pk_fma_f16 v73, v40, v63, v73
	ds_read2_b64 v[37:40], v36 offset0:128 offset1:160
	s_waitcnt lgkmcnt(1)
	v_pk_fma_f16 v70, v41, v47, v70
	v_pk_fma_f16 v59, v41, v63, v59
	v_pk_fma_f16 v71, v42, v47, v71
	v_pk_fma_f16 v60, v42, v63, v60
	v_pk_fma_f16 v72, v43, v47, v72
	v_pk_fma_f16 v61, v43, v63, v61
	v_pk_fma_f16 v45, v44, v47, v45
	v_pk_fma_f16 v46, v44, v63, v46
	ds_read2_b64 v[41:44], v36 offset0:192 offset1:224
	;; [unrolled: 45-line block ×5, first 2 shown]
	s_or_b32 s8, s6, 16
	s_mul_hi_i32 s9, s8, s15
	s_mul_i32 s8, s8, s15
	v_mul_u32_u24_sdwa v101, v8, s26 dst_sel:DWORD dst_unused:UNUSED_PAD src0_sel:WORD_0 src1_sel:DWORD
	v_mul_u32_u24_sdwa v102, v8, s26 dst_sel:DWORD dst_unused:UNUSED_PAD src0_sel:WORD_1 src1_sel:DWORD
	s_lshl_b64 s[8:9], s[8:9], 2
	s_waitcnt lgkmcnt(1)
	v_pk_fma_f16 v104, v42, v101, v64
	v_pk_fma_f16 v105, v42, v102, v65
	;; [unrolled: 1-line block ×4, first 2 shown]
	v_mov_b32_e32 v43, s9
	v_add_co_u32_e32 v42, vcc, s8, v28
	v_pk_fma_f16 v49, v40, v101, v49
	v_pk_fma_f16 v48, v40, v102, v48
	;; [unrolled: 1-line block ×4, first 2 shown]
	v_add_u32_e32 v41, 0x3000, v27
	v_add_u32_e32 v40, 0x3800, v27
	v_addc_co_u32_e32 v43, vcc, v29, v43, vcc
	s_waitcnt lgkmcnt(0)
	v_pk_fma_f16 v108, v44, v101, v68
	v_pk_fma_f16 v44, v44, v102, v59
	ds_read2_b64 v[5:8], v41 offset1:32
	ds_read2_b64 v[59:62], v41 offset0:64 offset1:96
	ds_read2_b64 v[63:66], v41 offset0:128 offset1:160
	ds_read2_b64 v[67:70], v41 offset0:192 offset1:224
	ds_read2_b64 v[71:74], v40 offset1:32
	ds_read2_b64 v[75:78], v40 offset0:64 offset1:96
	ds_read2_b64 v[79:82], v40 offset0:128 offset1:160
	;; [unrolled: 1-line block ×3, first 2 shown]
	s_waitcnt lgkmcnt(0)
	s_barrier
	global_load_dwordx4 v[87:90], v[42:43], off
	global_load_dwordx4 v[91:94], v[42:43], off offset:512
	v_pk_fma_f16 v42, v45, v101, v95
	v_pk_fma_f16 v43, v45, v102, v96
	v_pk_fma_f16 v45, v46, v101, v97
	v_pk_fma_f16 v46, v46, v102, v98
	v_pk_fma_f16 v95, v47, v101, v99
	v_pk_fma_f16 v47, v47, v102, v100
	v_mul_u32_u24_sdwa v96, v1, s26 dst_sel:DWORD dst_unused:UNUSED_PAD src0_sel:WORD_0 src1_sel:DWORD
	v_mul_u32_u24_sdwa v1, v1, s26 dst_sel:DWORD dst_unused:UNUSED_PAD src0_sel:WORD_1 src1_sel:DWORD
	v_pk_fma_f16 v49, v5, v96, v49
	v_pk_fma_f16 v5, v5, v1, v48
	v_pk_fma_f16 v48, v6, v96, v50
	v_pk_fma_f16 v6, v6, v1, v103
	v_pk_fma_f16 v50, v7, v96, v104
	v_pk_fma_f16 v7, v7, v1, v105
	v_pk_fma_f16 v97, v8, v96, v106
	v_pk_fma_f16 v8, v8, v1, v107
	v_pk_fma_f16 v98, v59, v96, v108
	v_pk_fma_f16 v44, v59, v1, v44
	v_pk_fma_f16 v42, v60, v96, v42
	v_pk_fma_f16 v43, v60, v1, v43
	v_pk_fma_f16 v45, v61, v96, v45
	v_pk_fma_f16 v46, v61, v1, v46
	v_pk_fma_f16 v59, v62, v96, v95
	v_pk_fma_f16 v1, v62, v1, v47
	v_mul_u32_u24_sdwa v47, v2, s26 dst_sel:DWORD dst_unused:UNUSED_PAD src0_sel:WORD_0 src1_sel:DWORD
	v_mul_u32_u24_sdwa v2, v2, s26 dst_sel:DWORD dst_unused:UNUSED_PAD src0_sel:WORD_1 src1_sel:DWORD
	v_pk_fma_f16 v49, v63, v47, v49
	v_pk_fma_f16 v5, v63, v2, v5
	v_pk_fma_f16 v48, v64, v47, v48
	v_pk_fma_f16 v6, v64, v2, v6
	v_pk_fma_f16 v50, v65, v47, v50
	v_pk_fma_f16 v7, v65, v2, v7
	v_pk_fma_f16 v60, v66, v47, v97
	v_pk_fma_f16 v8, v66, v2, v8
	v_pk_fma_f16 v61, v67, v47, v98
	v_pk_fma_f16 v44, v67, v2, v44
	;; [unrolled: 18-line block ×4, first 2 shown]
	v_pk_fma_f16 v76, v84, v3, v42
	v_pk_fma_f16 v77, v84, v4, v43
	;; [unrolled: 1-line block ×6, first 2 shown]
	s_waitcnt vmcnt(1)
	ds_write_b128 v25, v[87:90]
	s_waitcnt vmcnt(0)
	ds_write_b128 v26, v[91:94]
	s_waitcnt lgkmcnt(0)
	s_barrier
	ds_read2_b64 v[42:45], v27 offset1:32
	ds_read_b128 v[46:49], v24 offset:64
	ds_read2_b64 v[59:62], v27 offset0:64 offset1:96
	ds_read_b128 v[63:66], v24 offset:80
	ds_read_b128 v[5:8], v24 offset:96
	;; [unrolled: 1-line block ×3, first 2 shown]
	s_waitcnt lgkmcnt(4)
	v_mul_u32_u24_sdwa v82, v46, s26 dst_sel:DWORD dst_unused:UNUSED_PAD src0_sel:WORD_0 src1_sel:DWORD
	v_mul_u32_u24_sdwa v46, v46, s26 dst_sel:DWORD dst_unused:UNUSED_PAD src0_sel:WORD_1 src1_sel:DWORD
	v_pk_fma_f16 v67, v42, v82, v67
	v_pk_fma_f16 v68, v42, v46, v68
	v_pk_fma_f16 v69, v43, v82, v69
	v_pk_fma_f16 v70, v43, v46, v70
	v_pk_fma_f16 v50, v44, v82, v50
	v_pk_fma_f16 v71, v44, v46, v71
	v_pk_fma_f16 v72, v45, v82, v72
	v_pk_fma_f16 v73, v45, v46, v73
	s_waitcnt lgkmcnt(3)
	v_pk_fma_f16 v74, v59, v82, v74
	v_pk_fma_f16 v75, v59, v46, v75
	v_pk_fma_f16 v76, v60, v82, v76
	v_pk_fma_f16 v77, v60, v46, v77
	v_pk_fma_f16 v78, v61, v82, v78
	v_pk_fma_f16 v79, v61, v46, v79
	v_pk_fma_f16 v80, v62, v82, v80
	ds_read2_b64 v[42:45], v27 offset0:128 offset1:160
	v_pk_fma_f16 v46, v62, v46, v81
	ds_read2_b64 v[59:62], v27 offset0:192 offset1:224
	v_mul_u32_u24_sdwa v81, v47, s26 dst_sel:DWORD dst_unused:UNUSED_PAD src0_sel:WORD_0 src1_sel:DWORD
	v_mul_u32_u24_sdwa v47, v47, s26 dst_sel:DWORD dst_unused:UNUSED_PAD src0_sel:WORD_1 src1_sel:DWORD
	s_waitcnt lgkmcnt(1)
	v_pk_fma_f16 v67, v42, v81, v67
	v_pk_fma_f16 v68, v42, v47, v68
	v_pk_fma_f16 v69, v43, v81, v69
	v_pk_fma_f16 v70, v43, v47, v70
	v_pk_fma_f16 v50, v44, v81, v50
	v_pk_fma_f16 v71, v44, v47, v71
	v_pk_fma_f16 v72, v45, v81, v72
	v_pk_fma_f16 v73, v45, v47, v73
	s_waitcnt lgkmcnt(0)
	v_pk_fma_f16 v74, v59, v81, v74
	v_pk_fma_f16 v75, v59, v47, v75
	v_pk_fma_f16 v76, v60, v81, v76
	v_pk_fma_f16 v77, v60, v47, v77
	v_pk_fma_f16 v78, v61, v81, v78
	v_pk_fma_f16 v79, v61, v47, v79
	v_pk_fma_f16 v80, v62, v81, v80
	ds_read2_b64 v[42:45], v35 offset1:32
	v_pk_fma_f16 v46, v62, v47, v46
	ds_read2_b64 v[59:62], v35 offset0:64 offset1:96
	v_mul_u32_u24_sdwa v47, v48, s26 dst_sel:DWORD dst_unused:UNUSED_PAD src0_sel:WORD_0 src1_sel:DWORD
	v_mul_u32_u24_sdwa v48, v48, s26 dst_sel:DWORD dst_unused:UNUSED_PAD src0_sel:WORD_1 src1_sel:DWORD
	s_waitcnt lgkmcnt(1)
	v_pk_fma_f16 v67, v42, v47, v67
	v_pk_fma_f16 v68, v42, v48, v68
	v_pk_fma_f16 v69, v43, v47, v69
	v_pk_fma_f16 v70, v43, v48, v70
	v_pk_fma_f16 v50, v44, v47, v50
	v_pk_fma_f16 v71, v44, v48, v71
	v_pk_fma_f16 v72, v45, v47, v72
	v_pk_fma_f16 v73, v45, v48, v73
	s_waitcnt lgkmcnt(0)
	v_pk_fma_f16 v74, v59, v47, v74
	v_pk_fma_f16 v75, v59, v48, v75
	v_pk_fma_f16 v76, v60, v47, v76
	v_pk_fma_f16 v77, v60, v48, v77
	v_pk_fma_f16 v78, v61, v47, v78
	v_pk_fma_f16 v79, v61, v48, v79
	v_pk_fma_f16 v47, v62, v47, v80
	ds_read2_b64 v[42:45], v35 offset0:128 offset1:160
	v_pk_fma_f16 v46, v62, v48, v46
	ds_read2_b64 v[59:62], v35 offset0:192 offset1:224
	v_mul_u32_u24_sdwa v48, v49, s26 dst_sel:DWORD dst_unused:UNUSED_PAD src0_sel:WORD_0 src1_sel:DWORD
	v_mul_u32_u24_sdwa v49, v49, s26 dst_sel:DWORD dst_unused:UNUSED_PAD src0_sel:WORD_1 src1_sel:DWORD
	s_waitcnt lgkmcnt(1)
	v_pk_fma_f16 v67, v42, v48, v67
	v_pk_fma_f16 v68, v42, v49, v68
	v_pk_fma_f16 v69, v43, v48, v69
	v_pk_fma_f16 v70, v43, v49, v70
	v_pk_fma_f16 v50, v44, v48, v50
	v_pk_fma_f16 v71, v44, v49, v71
	v_pk_fma_f16 v72, v45, v48, v72
	v_pk_fma_f16 v73, v45, v49, v73
	s_waitcnt lgkmcnt(0)
	v_pk_fma_f16 v74, v59, v48, v74
	v_pk_fma_f16 v59, v59, v49, v75
	v_pk_fma_f16 v75, v60, v48, v76
	v_pk_fma_f16 v60, v60, v49, v77
	v_pk_fma_f16 v76, v61, v48, v78
	v_pk_fma_f16 v61, v61, v49, v79
	v_pk_fma_f16 v77, v62, v48, v47
	ds_read2_b64 v[42:45], v36 offset1:32
	v_pk_fma_f16 v62, v62, v49, v46
	ds_read2_b64 v[46:49], v36 offset0:64 offset1:96
	v_mul_u32_u24_sdwa v78, v63, s26 dst_sel:DWORD dst_unused:UNUSED_PAD src0_sel:WORD_0 src1_sel:DWORD
	v_mul_u32_u24_sdwa v63, v63, s26 dst_sel:DWORD dst_unused:UNUSED_PAD src0_sel:WORD_1 src1_sel:DWORD
	s_waitcnt lgkmcnt(1)
	;; [unrolled: 44-line block ×5, first 2 shown]
	v_pk_fma_f16 v63, v42, v6, v64
	v_pk_fma_f16 v64, v42, v7, v65
	;; [unrolled: 1-line block ×8, first 2 shown]
	s_waitcnt lgkmcnt(0)
	v_pk_fma_f16 v70, v46, v6, v71
	v_pk_fma_f16 v59, v46, v7, v59
	;; [unrolled: 1-line block ×7, first 2 shown]
	ds_read2_b64 v[42:45], v39 offset0:128 offset1:160
	v_pk_fma_f16 v96, v49, v7, v5
	ds_read2_b64 v[46:49], v39 offset0:192 offset1:224
	s_or_b32 s8, s6, 32
	s_mul_hi_i32 s9, s8, s15
	s_mul_i32 s8, s8, s15
	s_lshl_b64 s[8:9], s[8:9], 2
	v_mov_b32_e32 v83, s9
	v_add_co_u32_e32 v87, vcc, s8, v28
	v_mul_u32_u24_sdwa v97, v8, s26 dst_sel:DWORD dst_unused:UNUSED_PAD src0_sel:WORD_0 src1_sel:DWORD
	v_mul_u32_u24_sdwa v98, v8, s26 dst_sel:DWORD dst_unused:UNUSED_PAD src0_sel:WORD_1 src1_sel:DWORD
	v_addc_co_u32_e32 v88, vcc, v29, v83, vcc
	s_waitcnt lgkmcnt(1)
	v_pk_fma_f16 v99, v42, v97, v63
	v_pk_fma_f16 v100, v42, v98, v64
	;; [unrolled: 1-line block ×8, first 2 shown]
	s_waitcnt lgkmcnt(0)
	v_pk_fma_f16 v106, v46, v97, v70
	v_pk_fma_f16 v46, v46, v98, v59
	ds_read2_b64 v[5:8], v41 offset1:32
	ds_read2_b64 v[42:45], v41 offset0:64 offset1:96
	ds_read2_b64 v[59:62], v41 offset0:128 offset1:160
	;; [unrolled: 1-line block ×3, first 2 shown]
	ds_read2_b64 v[67:70], v40 offset1:32
	ds_read2_b64 v[71:74], v40 offset0:64 offset1:96
	ds_read2_b64 v[75:78], v40 offset0:128 offset1:160
	;; [unrolled: 1-line block ×3, first 2 shown]
	s_waitcnt lgkmcnt(0)
	s_barrier
	global_load_dwordx4 v[83:86], v[87:88], off
	s_nop 0
	global_load_dwordx4 v[87:90], v[87:88], off offset:512
	v_pk_fma_f16 v91, v47, v97, v91
	v_pk_fma_f16 v47, v47, v98, v92
	v_pk_fma_f16 v92, v48, v97, v93
	v_pk_fma_f16 v48, v48, v98, v94
	v_pk_fma_f16 v93, v49, v97, v95
	v_pk_fma_f16 v49, v49, v98, v96
	v_mul_u32_u24_sdwa v94, v1, s26 dst_sel:DWORD dst_unused:UNUSED_PAD src0_sel:WORD_0 src1_sel:DWORD
	v_mul_u32_u24_sdwa v1, v1, s26 dst_sel:DWORD dst_unused:UNUSED_PAD src0_sel:WORD_1 src1_sel:DWORD
	v_pk_fma_f16 v95, v5, v94, v99
	v_pk_fma_f16 v5, v5, v1, v100
	v_pk_fma_f16 v96, v6, v94, v101
	v_pk_fma_f16 v6, v6, v1, v102
	v_pk_fma_f16 v50, v7, v94, v50
	v_pk_fma_f16 v7, v7, v1, v103
	v_pk_fma_f16 v97, v8, v94, v104
	v_pk_fma_f16 v8, v8, v1, v105
	v_pk_fma_f16 v98, v42, v94, v106
	v_pk_fma_f16 v42, v42, v1, v46
	v_pk_fma_f16 v46, v43, v94, v91
	v_pk_fma_f16 v43, v43, v1, v47
	v_pk_fma_f16 v47, v44, v94, v92
	v_pk_fma_f16 v44, v44, v1, v48
	v_pk_fma_f16 v48, v45, v94, v93
	v_pk_fma_f16 v1, v45, v1, v49
	v_mul_u32_u24_sdwa v45, v2, s26 dst_sel:DWORD dst_unused:UNUSED_PAD src0_sel:WORD_0 src1_sel:DWORD
	v_mul_u32_u24_sdwa v2, v2, s26 dst_sel:DWORD dst_unused:UNUSED_PAD src0_sel:WORD_1 src1_sel:DWORD
	v_pk_fma_f16 v49, v59, v45, v95
	v_pk_fma_f16 v5, v59, v2, v5
	v_pk_fma_f16 v59, v60, v45, v96
	v_pk_fma_f16 v6, v60, v2, v6
	v_pk_fma_f16 v50, v61, v45, v50
	v_pk_fma_f16 v7, v61, v2, v7
	v_pk_fma_f16 v60, v62, v45, v97
	v_pk_fma_f16 v8, v62, v2, v8
	v_pk_fma_f16 v61, v63, v45, v98
	v_pk_fma_f16 v42, v63, v2, v42
	;; [unrolled: 18-line block ×4, first 2 shown]
	v_pk_fma_f16 v76, v80, v3, v46
	v_pk_fma_f16 v77, v80, v4, v43
	;; [unrolled: 1-line block ×6, first 2 shown]
	s_waitcnt vmcnt(1)
	ds_write_b128 v25, v[83:86]
	s_waitcnt vmcnt(0)
	ds_write_b128 v26, v[87:90]
	s_waitcnt lgkmcnt(0)
	s_barrier
	ds_read2_b64 v[42:45], v27 offset1:32
	ds_read_b128 v[46:49], v24 offset:128
	ds_read2_b64 v[59:62], v27 offset0:64 offset1:96
	ds_read_b128 v[63:66], v24 offset:144
	ds_read_b128 v[5:8], v24 offset:160
	;; [unrolled: 1-line block ×3, first 2 shown]
	s_waitcnt lgkmcnt(4)
	v_mul_u32_u24_sdwa v82, v46, s26 dst_sel:DWORD dst_unused:UNUSED_PAD src0_sel:WORD_0 src1_sel:DWORD
	v_mul_u32_u24_sdwa v46, v46, s26 dst_sel:DWORD dst_unused:UNUSED_PAD src0_sel:WORD_1 src1_sel:DWORD
	v_pk_fma_f16 v67, v42, v82, v67
	v_pk_fma_f16 v68, v42, v46, v68
	v_pk_fma_f16 v69, v43, v82, v69
	v_pk_fma_f16 v70, v43, v46, v70
	v_pk_fma_f16 v50, v44, v82, v50
	v_pk_fma_f16 v71, v44, v46, v71
	v_pk_fma_f16 v72, v45, v82, v72
	v_pk_fma_f16 v73, v45, v46, v73
	s_waitcnt lgkmcnt(3)
	v_pk_fma_f16 v74, v59, v82, v74
	v_pk_fma_f16 v75, v59, v46, v75
	v_pk_fma_f16 v76, v60, v82, v76
	v_pk_fma_f16 v77, v60, v46, v77
	v_pk_fma_f16 v78, v61, v82, v78
	v_pk_fma_f16 v79, v61, v46, v79
	v_pk_fma_f16 v80, v62, v82, v80
	ds_read2_b64 v[42:45], v27 offset0:128 offset1:160
	v_pk_fma_f16 v46, v62, v46, v81
	ds_read2_b64 v[59:62], v27 offset0:192 offset1:224
	v_mul_u32_u24_sdwa v81, v47, s26 dst_sel:DWORD dst_unused:UNUSED_PAD src0_sel:WORD_0 src1_sel:DWORD
	v_mul_u32_u24_sdwa v47, v47, s26 dst_sel:DWORD dst_unused:UNUSED_PAD src0_sel:WORD_1 src1_sel:DWORD
	s_waitcnt lgkmcnt(1)
	v_pk_fma_f16 v67, v42, v81, v67
	v_pk_fma_f16 v68, v42, v47, v68
	v_pk_fma_f16 v69, v43, v81, v69
	v_pk_fma_f16 v70, v43, v47, v70
	v_pk_fma_f16 v50, v44, v81, v50
	v_pk_fma_f16 v71, v44, v47, v71
	v_pk_fma_f16 v72, v45, v81, v72
	v_pk_fma_f16 v73, v45, v47, v73
	s_waitcnt lgkmcnt(0)
	v_pk_fma_f16 v74, v59, v81, v74
	v_pk_fma_f16 v75, v59, v47, v75
	v_pk_fma_f16 v76, v60, v81, v76
	v_pk_fma_f16 v77, v60, v47, v77
	v_pk_fma_f16 v78, v61, v81, v78
	v_pk_fma_f16 v79, v61, v47, v79
	v_pk_fma_f16 v80, v62, v81, v80
	ds_read2_b64 v[42:45], v35 offset1:32
	v_pk_fma_f16 v46, v62, v47, v46
	ds_read2_b64 v[59:62], v35 offset0:64 offset1:96
	v_mul_u32_u24_sdwa v47, v48, s26 dst_sel:DWORD dst_unused:UNUSED_PAD src0_sel:WORD_0 src1_sel:DWORD
	v_mul_u32_u24_sdwa v48, v48, s26 dst_sel:DWORD dst_unused:UNUSED_PAD src0_sel:WORD_1 src1_sel:DWORD
	s_waitcnt lgkmcnt(1)
	v_pk_fma_f16 v67, v42, v47, v67
	v_pk_fma_f16 v68, v42, v48, v68
	v_pk_fma_f16 v69, v43, v47, v69
	v_pk_fma_f16 v70, v43, v48, v70
	v_pk_fma_f16 v50, v44, v47, v50
	v_pk_fma_f16 v71, v44, v48, v71
	v_pk_fma_f16 v72, v45, v47, v72
	v_pk_fma_f16 v73, v45, v48, v73
	s_waitcnt lgkmcnt(0)
	v_pk_fma_f16 v74, v59, v47, v74
	v_pk_fma_f16 v75, v59, v48, v75
	v_pk_fma_f16 v76, v60, v47, v76
	v_pk_fma_f16 v77, v60, v48, v77
	v_pk_fma_f16 v78, v61, v47, v78
	v_pk_fma_f16 v79, v61, v48, v79
	v_pk_fma_f16 v47, v62, v47, v80
	ds_read2_b64 v[42:45], v35 offset0:128 offset1:160
	v_pk_fma_f16 v46, v62, v48, v46
	ds_read2_b64 v[59:62], v35 offset0:192 offset1:224
	v_mul_u32_u24_sdwa v48, v49, s26 dst_sel:DWORD dst_unused:UNUSED_PAD src0_sel:WORD_0 src1_sel:DWORD
	v_mul_u32_u24_sdwa v49, v49, s26 dst_sel:DWORD dst_unused:UNUSED_PAD src0_sel:WORD_1 src1_sel:DWORD
	s_waitcnt lgkmcnt(1)
	v_pk_fma_f16 v67, v42, v48, v67
	v_pk_fma_f16 v68, v42, v49, v68
	v_pk_fma_f16 v69, v43, v48, v69
	v_pk_fma_f16 v70, v43, v49, v70
	v_pk_fma_f16 v50, v44, v48, v50
	v_pk_fma_f16 v71, v44, v49, v71
	v_pk_fma_f16 v72, v45, v48, v72
	v_pk_fma_f16 v73, v45, v49, v73
	s_waitcnt lgkmcnt(0)
	v_pk_fma_f16 v74, v59, v48, v74
	v_pk_fma_f16 v59, v59, v49, v75
	v_pk_fma_f16 v75, v60, v48, v76
	v_pk_fma_f16 v60, v60, v49, v77
	v_pk_fma_f16 v76, v61, v48, v78
	v_pk_fma_f16 v61, v61, v49, v79
	v_pk_fma_f16 v77, v62, v48, v47
	ds_read2_b64 v[42:45], v36 offset1:32
	v_pk_fma_f16 v62, v62, v49, v46
	ds_read2_b64 v[46:49], v36 offset0:64 offset1:96
	v_mul_u32_u24_sdwa v78, v63, s26 dst_sel:DWORD dst_unused:UNUSED_PAD src0_sel:WORD_0 src1_sel:DWORD
	v_mul_u32_u24_sdwa v63, v63, s26 dst_sel:DWORD dst_unused:UNUSED_PAD src0_sel:WORD_1 src1_sel:DWORD
	s_waitcnt lgkmcnt(1)
	;; [unrolled: 44-line block ×5, first 2 shown]
	v_pk_fma_f16 v63, v42, v6, v64
	v_pk_fma_f16 v64, v42, v7, v65
	;; [unrolled: 1-line block ×8, first 2 shown]
	s_waitcnt lgkmcnt(0)
	v_pk_fma_f16 v70, v46, v6, v71
	v_pk_fma_f16 v59, v46, v7, v59
	;; [unrolled: 1-line block ×7, first 2 shown]
	ds_read2_b64 v[42:45], v39 offset0:128 offset1:160
	v_pk_fma_f16 v96, v49, v7, v5
	ds_read2_b64 v[46:49], v39 offset0:192 offset1:224
	s_or_b32 s8, s6, 48
	s_mul_hi_i32 s9, s8, s15
	s_mul_i32 s8, s8, s15
	s_lshl_b64 s[8:9], s[8:9], 2
	v_mov_b32_e32 v83, s9
	v_add_co_u32_e32 v87, vcc, s8, v28
	v_mul_u32_u24_sdwa v97, v8, s26 dst_sel:DWORD dst_unused:UNUSED_PAD src0_sel:WORD_0 src1_sel:DWORD
	v_mul_u32_u24_sdwa v98, v8, s26 dst_sel:DWORD dst_unused:UNUSED_PAD src0_sel:WORD_1 src1_sel:DWORD
	v_addc_co_u32_e32 v88, vcc, v29, v83, vcc
	s_waitcnt lgkmcnt(1)
	v_pk_fma_f16 v99, v42, v97, v63
	v_pk_fma_f16 v100, v42, v98, v64
	;; [unrolled: 1-line block ×8, first 2 shown]
	s_waitcnt lgkmcnt(0)
	v_pk_fma_f16 v106, v46, v97, v70
	v_pk_fma_f16 v46, v46, v98, v59
	ds_read2_b64 v[5:8], v41 offset1:32
	ds_read2_b64 v[42:45], v41 offset0:64 offset1:96
	ds_read2_b64 v[59:62], v41 offset0:128 offset1:160
	;; [unrolled: 1-line block ×3, first 2 shown]
	ds_read2_b64 v[67:70], v40 offset1:32
	ds_read2_b64 v[71:74], v40 offset0:64 offset1:96
	ds_read2_b64 v[75:78], v40 offset0:128 offset1:160
	;; [unrolled: 1-line block ×3, first 2 shown]
	s_waitcnt lgkmcnt(0)
	s_barrier
	global_load_dwordx4 v[83:86], v[87:88], off
	s_nop 0
	global_load_dwordx4 v[87:90], v[87:88], off offset:512
	v_pk_fma_f16 v91, v47, v97, v91
	v_pk_fma_f16 v47, v47, v98, v92
	v_pk_fma_f16 v92, v48, v97, v93
	v_pk_fma_f16 v48, v48, v98, v94
	v_pk_fma_f16 v93, v49, v97, v95
	v_pk_fma_f16 v49, v49, v98, v96
	v_mul_u32_u24_sdwa v94, v1, s26 dst_sel:DWORD dst_unused:UNUSED_PAD src0_sel:WORD_0 src1_sel:DWORD
	v_mul_u32_u24_sdwa v1, v1, s26 dst_sel:DWORD dst_unused:UNUSED_PAD src0_sel:WORD_1 src1_sel:DWORD
	v_pk_fma_f16 v95, v5, v94, v99
	v_pk_fma_f16 v5, v5, v1, v100
	v_pk_fma_f16 v96, v6, v94, v101
	v_pk_fma_f16 v6, v6, v1, v102
	v_pk_fma_f16 v50, v7, v94, v50
	v_pk_fma_f16 v7, v7, v1, v103
	v_pk_fma_f16 v97, v8, v94, v104
	v_pk_fma_f16 v8, v8, v1, v105
	v_pk_fma_f16 v98, v42, v94, v106
	v_pk_fma_f16 v42, v42, v1, v46
	v_pk_fma_f16 v46, v43, v94, v91
	v_pk_fma_f16 v43, v43, v1, v47
	v_pk_fma_f16 v47, v44, v94, v92
	v_pk_fma_f16 v44, v44, v1, v48
	v_pk_fma_f16 v48, v45, v94, v93
	v_pk_fma_f16 v1, v45, v1, v49
	v_mul_u32_u24_sdwa v45, v2, s26 dst_sel:DWORD dst_unused:UNUSED_PAD src0_sel:WORD_0 src1_sel:DWORD
	v_mul_u32_u24_sdwa v2, v2, s26 dst_sel:DWORD dst_unused:UNUSED_PAD src0_sel:WORD_1 src1_sel:DWORD
	v_pk_fma_f16 v49, v59, v45, v95
	v_pk_fma_f16 v5, v59, v2, v5
	v_pk_fma_f16 v59, v60, v45, v96
	v_pk_fma_f16 v6, v60, v2, v6
	v_pk_fma_f16 v50, v61, v45, v50
	v_pk_fma_f16 v7, v61, v2, v7
	v_pk_fma_f16 v60, v62, v45, v97
	v_pk_fma_f16 v8, v62, v2, v8
	v_pk_fma_f16 v61, v63, v45, v98
	v_pk_fma_f16 v42, v63, v2, v42
	;; [unrolled: 18-line block ×4, first 2 shown]
	v_pk_fma_f16 v76, v80, v3, v46
	v_pk_fma_f16 v77, v80, v4, v43
	;; [unrolled: 1-line block ×6, first 2 shown]
	s_waitcnt vmcnt(1)
	ds_write_b128 v25, v[83:86]
	s_waitcnt vmcnt(0)
	ds_write_b128 v26, v[87:90]
	s_waitcnt lgkmcnt(0)
	s_barrier
	ds_read2_b64 v[42:45], v27 offset1:32
	ds_read_b128 v[46:49], v24 offset:192
	ds_read2_b64 v[59:62], v27 offset0:64 offset1:96
	ds_read_b128 v[63:66], v24 offset:208
	ds_read_b128 v[5:8], v24 offset:224
	;; [unrolled: 1-line block ×3, first 2 shown]
	s_waitcnt lgkmcnt(4)
	v_mul_u32_u24_sdwa v82, v46, s26 dst_sel:DWORD dst_unused:UNUSED_PAD src0_sel:WORD_0 src1_sel:DWORD
	v_mul_u32_u24_sdwa v46, v46, s26 dst_sel:DWORD dst_unused:UNUSED_PAD src0_sel:WORD_1 src1_sel:DWORD
	v_pk_fma_f16 v67, v42, v82, v67
	v_pk_fma_f16 v68, v42, v46, v68
	v_pk_fma_f16 v69, v43, v82, v69
	v_pk_fma_f16 v70, v43, v46, v70
	v_pk_fma_f16 v50, v44, v82, v50
	v_pk_fma_f16 v71, v44, v46, v71
	v_pk_fma_f16 v72, v45, v82, v72
	v_pk_fma_f16 v73, v45, v46, v73
	s_waitcnt lgkmcnt(3)
	v_pk_fma_f16 v74, v59, v82, v74
	v_pk_fma_f16 v75, v59, v46, v75
	v_pk_fma_f16 v76, v60, v82, v76
	v_pk_fma_f16 v77, v60, v46, v77
	v_pk_fma_f16 v78, v61, v82, v78
	v_pk_fma_f16 v79, v61, v46, v79
	v_pk_fma_f16 v80, v62, v82, v80
	ds_read2_b64 v[42:45], v27 offset0:128 offset1:160
	v_pk_fma_f16 v46, v62, v46, v81
	ds_read2_b64 v[59:62], v27 offset0:192 offset1:224
	v_mul_u32_u24_sdwa v81, v47, s26 dst_sel:DWORD dst_unused:UNUSED_PAD src0_sel:WORD_0 src1_sel:DWORD
	v_mul_u32_u24_sdwa v47, v47, s26 dst_sel:DWORD dst_unused:UNUSED_PAD src0_sel:WORD_1 src1_sel:DWORD
	s_waitcnt lgkmcnt(1)
	v_pk_fma_f16 v67, v42, v81, v67
	v_pk_fma_f16 v68, v42, v47, v68
	v_pk_fma_f16 v69, v43, v81, v69
	v_pk_fma_f16 v70, v43, v47, v70
	v_pk_fma_f16 v50, v44, v81, v50
	v_pk_fma_f16 v71, v44, v47, v71
	v_pk_fma_f16 v72, v45, v81, v72
	v_pk_fma_f16 v73, v45, v47, v73
	s_waitcnt lgkmcnt(0)
	v_pk_fma_f16 v74, v59, v81, v74
	v_pk_fma_f16 v75, v59, v47, v75
	v_pk_fma_f16 v76, v60, v81, v76
	v_pk_fma_f16 v77, v60, v47, v77
	v_pk_fma_f16 v78, v61, v81, v78
	v_pk_fma_f16 v79, v61, v47, v79
	v_pk_fma_f16 v80, v62, v81, v80
	ds_read2_b64 v[42:45], v35 offset1:32
	v_pk_fma_f16 v46, v62, v47, v46
	ds_read2_b64 v[59:62], v35 offset0:64 offset1:96
	v_mul_u32_u24_sdwa v47, v48, s26 dst_sel:DWORD dst_unused:UNUSED_PAD src0_sel:WORD_0 src1_sel:DWORD
	v_mul_u32_u24_sdwa v48, v48, s26 dst_sel:DWORD dst_unused:UNUSED_PAD src0_sel:WORD_1 src1_sel:DWORD
	s_waitcnt lgkmcnt(1)
	v_pk_fma_f16 v67, v42, v47, v67
	v_pk_fma_f16 v68, v42, v48, v68
	v_pk_fma_f16 v69, v43, v47, v69
	v_pk_fma_f16 v70, v43, v48, v70
	v_pk_fma_f16 v50, v44, v47, v50
	v_pk_fma_f16 v71, v44, v48, v71
	v_pk_fma_f16 v72, v45, v47, v72
	v_pk_fma_f16 v73, v45, v48, v73
	s_waitcnt lgkmcnt(0)
	v_pk_fma_f16 v74, v59, v47, v74
	v_pk_fma_f16 v75, v59, v48, v75
	v_pk_fma_f16 v76, v60, v47, v76
	v_pk_fma_f16 v77, v60, v48, v77
	v_pk_fma_f16 v78, v61, v47, v78
	v_pk_fma_f16 v79, v61, v48, v79
	v_pk_fma_f16 v47, v62, v47, v80
	ds_read2_b64 v[42:45], v35 offset0:128 offset1:160
	v_pk_fma_f16 v46, v62, v48, v46
	ds_read2_b64 v[59:62], v35 offset0:192 offset1:224
	v_mul_u32_u24_sdwa v48, v49, s26 dst_sel:DWORD dst_unused:UNUSED_PAD src0_sel:WORD_0 src1_sel:DWORD
	v_mul_u32_u24_sdwa v49, v49, s26 dst_sel:DWORD dst_unused:UNUSED_PAD src0_sel:WORD_1 src1_sel:DWORD
	s_waitcnt lgkmcnt(1)
	v_pk_fma_f16 v67, v42, v48, v67
	v_pk_fma_f16 v68, v42, v49, v68
	v_pk_fma_f16 v69, v43, v48, v69
	v_pk_fma_f16 v70, v43, v49, v70
	v_pk_fma_f16 v50, v44, v48, v50
	v_pk_fma_f16 v71, v44, v49, v71
	v_pk_fma_f16 v72, v45, v48, v72
	v_pk_fma_f16 v73, v45, v49, v73
	s_waitcnt lgkmcnt(0)
	v_pk_fma_f16 v74, v59, v48, v74
	v_pk_fma_f16 v59, v59, v49, v75
	v_pk_fma_f16 v75, v60, v48, v76
	v_pk_fma_f16 v60, v60, v49, v77
	v_pk_fma_f16 v76, v61, v48, v78
	v_pk_fma_f16 v61, v61, v49, v79
	v_pk_fma_f16 v77, v62, v48, v47
	ds_read2_b64 v[42:45], v36 offset1:32
	v_pk_fma_f16 v62, v62, v49, v46
	ds_read2_b64 v[46:49], v36 offset0:64 offset1:96
	v_mul_u32_u24_sdwa v78, v63, s26 dst_sel:DWORD dst_unused:UNUSED_PAD src0_sel:WORD_0 src1_sel:DWORD
	v_mul_u32_u24_sdwa v63, v63, s26 dst_sel:DWORD dst_unused:UNUSED_PAD src0_sel:WORD_1 src1_sel:DWORD
	s_waitcnt lgkmcnt(1)
	;; [unrolled: 44-line block ×5, first 2 shown]
	v_pk_fma_f16 v63, v42, v6, v64
	v_pk_fma_f16 v64, v42, v7, v65
	v_pk_fma_f16 v65, v43, v6, v66
	v_pk_fma_f16 v66, v43, v7, v67
	v_pk_fma_f16 v50, v44, v6, v50
	v_pk_fma_f16 v67, v44, v7, v68
	v_pk_fma_f16 v68, v45, v6, v69
	v_pk_fma_f16 v69, v45, v7, v70
	s_waitcnt lgkmcnt(0)
	v_pk_fma_f16 v70, v46, v6, v71
	v_pk_fma_f16 v59, v46, v7, v59
	;; [unrolled: 1-line block ×7, first 2 shown]
	ds_read2_b64 v[42:45], v39 offset0:128 offset1:160
	v_pk_fma_f16 v96, v49, v7, v5
	ds_read2_b64 v[46:49], v39 offset0:192 offset1:224
	s_or_b32 s8, s6, 64
	s_mul_hi_i32 s9, s8, s15
	s_mul_i32 s8, s8, s15
	s_lshl_b64 s[8:9], s[8:9], 2
	v_mov_b32_e32 v83, s9
	v_add_co_u32_e32 v87, vcc, s8, v28
	v_mul_u32_u24_sdwa v97, v8, s26 dst_sel:DWORD dst_unused:UNUSED_PAD src0_sel:WORD_0 src1_sel:DWORD
	v_mul_u32_u24_sdwa v98, v8, s26 dst_sel:DWORD dst_unused:UNUSED_PAD src0_sel:WORD_1 src1_sel:DWORD
	v_addc_co_u32_e32 v88, vcc, v29, v83, vcc
	s_waitcnt lgkmcnt(1)
	v_pk_fma_f16 v99, v42, v97, v63
	v_pk_fma_f16 v100, v42, v98, v64
	;; [unrolled: 1-line block ×8, first 2 shown]
	s_waitcnt lgkmcnt(0)
	v_pk_fma_f16 v106, v46, v97, v70
	v_pk_fma_f16 v46, v46, v98, v59
	ds_read2_b64 v[5:8], v41 offset1:32
	ds_read2_b64 v[42:45], v41 offset0:64 offset1:96
	ds_read2_b64 v[59:62], v41 offset0:128 offset1:160
	;; [unrolled: 1-line block ×3, first 2 shown]
	ds_read2_b64 v[67:70], v40 offset1:32
	ds_read2_b64 v[71:74], v40 offset0:64 offset1:96
	ds_read2_b64 v[75:78], v40 offset0:128 offset1:160
	ds_read2_b64 v[79:82], v40 offset0:192 offset1:224
	s_waitcnt lgkmcnt(0)
	s_barrier
	global_load_dwordx4 v[83:86], v[87:88], off
	s_nop 0
	global_load_dwordx4 v[87:90], v[87:88], off offset:512
	v_pk_fma_f16 v91, v47, v97, v91
	v_pk_fma_f16 v47, v47, v98, v92
	v_pk_fma_f16 v92, v48, v97, v93
	v_pk_fma_f16 v48, v48, v98, v94
	v_pk_fma_f16 v93, v49, v97, v95
	v_pk_fma_f16 v49, v49, v98, v96
	v_mul_u32_u24_sdwa v94, v1, s26 dst_sel:DWORD dst_unused:UNUSED_PAD src0_sel:WORD_0 src1_sel:DWORD
	v_mul_u32_u24_sdwa v1, v1, s26 dst_sel:DWORD dst_unused:UNUSED_PAD src0_sel:WORD_1 src1_sel:DWORD
	v_pk_fma_f16 v95, v5, v94, v99
	v_pk_fma_f16 v5, v5, v1, v100
	v_pk_fma_f16 v96, v6, v94, v101
	v_pk_fma_f16 v6, v6, v1, v102
	v_pk_fma_f16 v50, v7, v94, v50
	v_pk_fma_f16 v7, v7, v1, v103
	v_pk_fma_f16 v97, v8, v94, v104
	v_pk_fma_f16 v8, v8, v1, v105
	v_pk_fma_f16 v98, v42, v94, v106
	v_pk_fma_f16 v42, v42, v1, v46
	v_pk_fma_f16 v46, v43, v94, v91
	v_pk_fma_f16 v43, v43, v1, v47
	v_pk_fma_f16 v47, v44, v94, v92
	v_pk_fma_f16 v44, v44, v1, v48
	v_pk_fma_f16 v48, v45, v94, v93
	v_pk_fma_f16 v1, v45, v1, v49
	v_mul_u32_u24_sdwa v45, v2, s26 dst_sel:DWORD dst_unused:UNUSED_PAD src0_sel:WORD_0 src1_sel:DWORD
	v_mul_u32_u24_sdwa v2, v2, s26 dst_sel:DWORD dst_unused:UNUSED_PAD src0_sel:WORD_1 src1_sel:DWORD
	v_pk_fma_f16 v49, v59, v45, v95
	v_pk_fma_f16 v5, v59, v2, v5
	v_pk_fma_f16 v59, v60, v45, v96
	v_pk_fma_f16 v6, v60, v2, v6
	v_pk_fma_f16 v50, v61, v45, v50
	v_pk_fma_f16 v7, v61, v2, v7
	v_pk_fma_f16 v60, v62, v45, v97
	v_pk_fma_f16 v8, v62, v2, v8
	v_pk_fma_f16 v61, v63, v45, v98
	v_pk_fma_f16 v42, v63, v2, v42
	;; [unrolled: 18-line block ×4, first 2 shown]
	v_pk_fma_f16 v76, v80, v3, v46
	v_pk_fma_f16 v77, v80, v4, v43
	;; [unrolled: 1-line block ×6, first 2 shown]
	s_waitcnt vmcnt(1)
	ds_write_b128 v25, v[83:86]
	s_waitcnt vmcnt(0)
	ds_write_b128 v26, v[87:90]
	s_waitcnt lgkmcnt(0)
	s_barrier
	ds_read2_b64 v[42:45], v27 offset1:32
	ds_read_b128 v[46:49], v24 offset:256
	ds_read2_b64 v[59:62], v27 offset0:64 offset1:96
	ds_read_b128 v[63:66], v24 offset:272
	ds_read_b128 v[5:8], v24 offset:288
	;; [unrolled: 1-line block ×3, first 2 shown]
	s_waitcnt lgkmcnt(4)
	v_mul_u32_u24_sdwa v82, v46, s26 dst_sel:DWORD dst_unused:UNUSED_PAD src0_sel:WORD_0 src1_sel:DWORD
	v_mul_u32_u24_sdwa v46, v46, s26 dst_sel:DWORD dst_unused:UNUSED_PAD src0_sel:WORD_1 src1_sel:DWORD
	v_pk_fma_f16 v67, v42, v82, v67
	v_pk_fma_f16 v68, v42, v46, v68
	v_pk_fma_f16 v69, v43, v82, v69
	v_pk_fma_f16 v70, v43, v46, v70
	v_pk_fma_f16 v50, v44, v82, v50
	v_pk_fma_f16 v71, v44, v46, v71
	v_pk_fma_f16 v72, v45, v82, v72
	v_pk_fma_f16 v73, v45, v46, v73
	s_waitcnt lgkmcnt(3)
	v_pk_fma_f16 v74, v59, v82, v74
	v_pk_fma_f16 v75, v59, v46, v75
	v_pk_fma_f16 v76, v60, v82, v76
	v_pk_fma_f16 v77, v60, v46, v77
	v_pk_fma_f16 v78, v61, v82, v78
	v_pk_fma_f16 v79, v61, v46, v79
	v_pk_fma_f16 v80, v62, v82, v80
	ds_read2_b64 v[42:45], v27 offset0:128 offset1:160
	v_pk_fma_f16 v46, v62, v46, v81
	ds_read2_b64 v[59:62], v27 offset0:192 offset1:224
	v_mul_u32_u24_sdwa v81, v47, s26 dst_sel:DWORD dst_unused:UNUSED_PAD src0_sel:WORD_0 src1_sel:DWORD
	v_mul_u32_u24_sdwa v47, v47, s26 dst_sel:DWORD dst_unused:UNUSED_PAD src0_sel:WORD_1 src1_sel:DWORD
	s_waitcnt lgkmcnt(1)
	v_pk_fma_f16 v67, v42, v81, v67
	v_pk_fma_f16 v68, v42, v47, v68
	v_pk_fma_f16 v69, v43, v81, v69
	v_pk_fma_f16 v70, v43, v47, v70
	v_pk_fma_f16 v50, v44, v81, v50
	v_pk_fma_f16 v71, v44, v47, v71
	v_pk_fma_f16 v72, v45, v81, v72
	v_pk_fma_f16 v73, v45, v47, v73
	s_waitcnt lgkmcnt(0)
	v_pk_fma_f16 v74, v59, v81, v74
	v_pk_fma_f16 v75, v59, v47, v75
	v_pk_fma_f16 v76, v60, v81, v76
	v_pk_fma_f16 v77, v60, v47, v77
	v_pk_fma_f16 v78, v61, v81, v78
	v_pk_fma_f16 v79, v61, v47, v79
	v_pk_fma_f16 v80, v62, v81, v80
	ds_read2_b64 v[42:45], v35 offset1:32
	v_pk_fma_f16 v46, v62, v47, v46
	ds_read2_b64 v[59:62], v35 offset0:64 offset1:96
	v_mul_u32_u24_sdwa v47, v48, s26 dst_sel:DWORD dst_unused:UNUSED_PAD src0_sel:WORD_0 src1_sel:DWORD
	v_mul_u32_u24_sdwa v48, v48, s26 dst_sel:DWORD dst_unused:UNUSED_PAD src0_sel:WORD_1 src1_sel:DWORD
	s_waitcnt lgkmcnt(1)
	v_pk_fma_f16 v67, v42, v47, v67
	v_pk_fma_f16 v68, v42, v48, v68
	v_pk_fma_f16 v69, v43, v47, v69
	v_pk_fma_f16 v70, v43, v48, v70
	v_pk_fma_f16 v50, v44, v47, v50
	v_pk_fma_f16 v71, v44, v48, v71
	v_pk_fma_f16 v72, v45, v47, v72
	v_pk_fma_f16 v73, v45, v48, v73
	s_waitcnt lgkmcnt(0)
	v_pk_fma_f16 v74, v59, v47, v74
	v_pk_fma_f16 v75, v59, v48, v75
	v_pk_fma_f16 v76, v60, v47, v76
	v_pk_fma_f16 v77, v60, v48, v77
	v_pk_fma_f16 v78, v61, v47, v78
	v_pk_fma_f16 v79, v61, v48, v79
	v_pk_fma_f16 v47, v62, v47, v80
	ds_read2_b64 v[42:45], v35 offset0:128 offset1:160
	v_pk_fma_f16 v46, v62, v48, v46
	ds_read2_b64 v[59:62], v35 offset0:192 offset1:224
	v_mul_u32_u24_sdwa v48, v49, s26 dst_sel:DWORD dst_unused:UNUSED_PAD src0_sel:WORD_0 src1_sel:DWORD
	v_mul_u32_u24_sdwa v49, v49, s26 dst_sel:DWORD dst_unused:UNUSED_PAD src0_sel:WORD_1 src1_sel:DWORD
	s_waitcnt lgkmcnt(1)
	v_pk_fma_f16 v67, v42, v48, v67
	v_pk_fma_f16 v68, v42, v49, v68
	v_pk_fma_f16 v69, v43, v48, v69
	v_pk_fma_f16 v70, v43, v49, v70
	v_pk_fma_f16 v50, v44, v48, v50
	v_pk_fma_f16 v71, v44, v49, v71
	v_pk_fma_f16 v72, v45, v48, v72
	v_pk_fma_f16 v73, v45, v49, v73
	s_waitcnt lgkmcnt(0)
	v_pk_fma_f16 v74, v59, v48, v74
	v_pk_fma_f16 v59, v59, v49, v75
	v_pk_fma_f16 v75, v60, v48, v76
	v_pk_fma_f16 v60, v60, v49, v77
	v_pk_fma_f16 v76, v61, v48, v78
	v_pk_fma_f16 v61, v61, v49, v79
	v_pk_fma_f16 v77, v62, v48, v47
	ds_read2_b64 v[42:45], v36 offset1:32
	v_pk_fma_f16 v62, v62, v49, v46
	ds_read2_b64 v[46:49], v36 offset0:64 offset1:96
	v_mul_u32_u24_sdwa v78, v63, s26 dst_sel:DWORD dst_unused:UNUSED_PAD src0_sel:WORD_0 src1_sel:DWORD
	v_mul_u32_u24_sdwa v63, v63, s26 dst_sel:DWORD dst_unused:UNUSED_PAD src0_sel:WORD_1 src1_sel:DWORD
	s_waitcnt lgkmcnt(1)
	;; [unrolled: 44-line block ×5, first 2 shown]
	v_pk_fma_f16 v63, v42, v6, v64
	v_pk_fma_f16 v64, v42, v7, v65
	;; [unrolled: 1-line block ×8, first 2 shown]
	s_waitcnt lgkmcnt(0)
	v_pk_fma_f16 v70, v46, v6, v71
	v_pk_fma_f16 v59, v46, v7, v59
	;; [unrolled: 1-line block ×7, first 2 shown]
	ds_read2_b64 v[42:45], v39 offset0:128 offset1:160
	v_pk_fma_f16 v96, v49, v7, v5
	ds_read2_b64 v[46:49], v39 offset0:192 offset1:224
	s_or_b32 s8, s6, 0x50
	s_mul_hi_i32 s9, s8, s15
	s_mul_i32 s8, s8, s15
	s_lshl_b64 s[8:9], s[8:9], 2
	v_mov_b32_e32 v83, s9
	v_add_co_u32_e32 v87, vcc, s8, v28
	v_mul_u32_u24_sdwa v97, v8, s26 dst_sel:DWORD dst_unused:UNUSED_PAD src0_sel:WORD_0 src1_sel:DWORD
	v_mul_u32_u24_sdwa v98, v8, s26 dst_sel:DWORD dst_unused:UNUSED_PAD src0_sel:WORD_1 src1_sel:DWORD
	v_addc_co_u32_e32 v88, vcc, v29, v83, vcc
	s_waitcnt lgkmcnt(1)
	v_pk_fma_f16 v99, v42, v97, v63
	v_pk_fma_f16 v100, v42, v98, v64
	;; [unrolled: 1-line block ×8, first 2 shown]
	s_waitcnt lgkmcnt(0)
	v_pk_fma_f16 v106, v46, v97, v70
	v_pk_fma_f16 v46, v46, v98, v59
	ds_read2_b64 v[5:8], v41 offset1:32
	ds_read2_b64 v[42:45], v41 offset0:64 offset1:96
	ds_read2_b64 v[59:62], v41 offset0:128 offset1:160
	;; [unrolled: 1-line block ×3, first 2 shown]
	ds_read2_b64 v[67:70], v40 offset1:32
	ds_read2_b64 v[71:74], v40 offset0:64 offset1:96
	ds_read2_b64 v[75:78], v40 offset0:128 offset1:160
	ds_read2_b64 v[79:82], v40 offset0:192 offset1:224
	s_waitcnt lgkmcnt(0)
	s_barrier
	global_load_dwordx4 v[83:86], v[87:88], off
	s_nop 0
	global_load_dwordx4 v[87:90], v[87:88], off offset:512
	v_pk_fma_f16 v91, v47, v97, v91
	v_pk_fma_f16 v47, v47, v98, v92
	v_pk_fma_f16 v92, v48, v97, v93
	v_pk_fma_f16 v48, v48, v98, v94
	v_pk_fma_f16 v93, v49, v97, v95
	v_pk_fma_f16 v49, v49, v98, v96
	v_mul_u32_u24_sdwa v94, v1, s26 dst_sel:DWORD dst_unused:UNUSED_PAD src0_sel:WORD_0 src1_sel:DWORD
	v_mul_u32_u24_sdwa v1, v1, s26 dst_sel:DWORD dst_unused:UNUSED_PAD src0_sel:WORD_1 src1_sel:DWORD
	v_pk_fma_f16 v95, v5, v94, v99
	v_pk_fma_f16 v5, v5, v1, v100
	v_pk_fma_f16 v96, v6, v94, v101
	v_pk_fma_f16 v6, v6, v1, v102
	v_pk_fma_f16 v50, v7, v94, v50
	v_pk_fma_f16 v7, v7, v1, v103
	v_pk_fma_f16 v97, v8, v94, v104
	v_pk_fma_f16 v8, v8, v1, v105
	v_pk_fma_f16 v98, v42, v94, v106
	v_pk_fma_f16 v42, v42, v1, v46
	v_pk_fma_f16 v46, v43, v94, v91
	v_pk_fma_f16 v43, v43, v1, v47
	v_pk_fma_f16 v47, v44, v94, v92
	v_pk_fma_f16 v44, v44, v1, v48
	v_pk_fma_f16 v48, v45, v94, v93
	v_pk_fma_f16 v1, v45, v1, v49
	v_mul_u32_u24_sdwa v45, v2, s26 dst_sel:DWORD dst_unused:UNUSED_PAD src0_sel:WORD_0 src1_sel:DWORD
	v_mul_u32_u24_sdwa v2, v2, s26 dst_sel:DWORD dst_unused:UNUSED_PAD src0_sel:WORD_1 src1_sel:DWORD
	v_pk_fma_f16 v49, v59, v45, v95
	v_pk_fma_f16 v5, v59, v2, v5
	v_pk_fma_f16 v59, v60, v45, v96
	v_pk_fma_f16 v6, v60, v2, v6
	v_pk_fma_f16 v50, v61, v45, v50
	v_pk_fma_f16 v7, v61, v2, v7
	v_pk_fma_f16 v60, v62, v45, v97
	v_pk_fma_f16 v8, v62, v2, v8
	v_pk_fma_f16 v61, v63, v45, v98
	v_pk_fma_f16 v42, v63, v2, v42
	;; [unrolled: 18-line block ×4, first 2 shown]
	v_pk_fma_f16 v76, v80, v3, v46
	v_pk_fma_f16 v77, v80, v4, v43
	;; [unrolled: 1-line block ×6, first 2 shown]
	s_waitcnt vmcnt(1)
	ds_write_b128 v25, v[83:86]
	s_waitcnt vmcnt(0)
	ds_write_b128 v26, v[87:90]
	s_waitcnt lgkmcnt(0)
	s_barrier
	ds_read2_b64 v[42:45], v27 offset1:32
	ds_read_b128 v[46:49], v24 offset:320
	ds_read2_b64 v[59:62], v27 offset0:64 offset1:96
	ds_read_b128 v[63:66], v24 offset:336
	ds_read_b128 v[5:8], v24 offset:352
	;; [unrolled: 1-line block ×3, first 2 shown]
	s_waitcnt lgkmcnt(4)
	v_mul_u32_u24_sdwa v82, v46, s26 dst_sel:DWORD dst_unused:UNUSED_PAD src0_sel:WORD_0 src1_sel:DWORD
	v_mul_u32_u24_sdwa v46, v46, s26 dst_sel:DWORD dst_unused:UNUSED_PAD src0_sel:WORD_1 src1_sel:DWORD
	v_pk_fma_f16 v67, v42, v82, v67
	v_pk_fma_f16 v68, v42, v46, v68
	v_pk_fma_f16 v69, v43, v82, v69
	v_pk_fma_f16 v70, v43, v46, v70
	v_pk_fma_f16 v50, v44, v82, v50
	v_pk_fma_f16 v71, v44, v46, v71
	v_pk_fma_f16 v72, v45, v82, v72
	v_pk_fma_f16 v73, v45, v46, v73
	s_waitcnt lgkmcnt(3)
	v_pk_fma_f16 v74, v59, v82, v74
	v_pk_fma_f16 v75, v59, v46, v75
	v_pk_fma_f16 v76, v60, v82, v76
	v_pk_fma_f16 v77, v60, v46, v77
	v_pk_fma_f16 v78, v61, v82, v78
	v_pk_fma_f16 v79, v61, v46, v79
	v_pk_fma_f16 v80, v62, v82, v80
	ds_read2_b64 v[42:45], v27 offset0:128 offset1:160
	v_pk_fma_f16 v46, v62, v46, v81
	ds_read2_b64 v[59:62], v27 offset0:192 offset1:224
	v_mul_u32_u24_sdwa v81, v47, s26 dst_sel:DWORD dst_unused:UNUSED_PAD src0_sel:WORD_0 src1_sel:DWORD
	v_mul_u32_u24_sdwa v47, v47, s26 dst_sel:DWORD dst_unused:UNUSED_PAD src0_sel:WORD_1 src1_sel:DWORD
	s_waitcnt lgkmcnt(1)
	v_pk_fma_f16 v67, v42, v81, v67
	v_pk_fma_f16 v68, v42, v47, v68
	v_pk_fma_f16 v69, v43, v81, v69
	v_pk_fma_f16 v70, v43, v47, v70
	v_pk_fma_f16 v50, v44, v81, v50
	v_pk_fma_f16 v71, v44, v47, v71
	v_pk_fma_f16 v72, v45, v81, v72
	v_pk_fma_f16 v73, v45, v47, v73
	s_waitcnt lgkmcnt(0)
	v_pk_fma_f16 v74, v59, v81, v74
	v_pk_fma_f16 v75, v59, v47, v75
	v_pk_fma_f16 v76, v60, v81, v76
	v_pk_fma_f16 v77, v60, v47, v77
	v_pk_fma_f16 v78, v61, v81, v78
	v_pk_fma_f16 v79, v61, v47, v79
	v_pk_fma_f16 v80, v62, v81, v80
	ds_read2_b64 v[42:45], v35 offset1:32
	v_pk_fma_f16 v46, v62, v47, v46
	ds_read2_b64 v[59:62], v35 offset0:64 offset1:96
	v_mul_u32_u24_sdwa v47, v48, s26 dst_sel:DWORD dst_unused:UNUSED_PAD src0_sel:WORD_0 src1_sel:DWORD
	v_mul_u32_u24_sdwa v48, v48, s26 dst_sel:DWORD dst_unused:UNUSED_PAD src0_sel:WORD_1 src1_sel:DWORD
	s_waitcnt lgkmcnt(1)
	v_pk_fma_f16 v67, v42, v47, v67
	v_pk_fma_f16 v68, v42, v48, v68
	v_pk_fma_f16 v69, v43, v47, v69
	v_pk_fma_f16 v70, v43, v48, v70
	v_pk_fma_f16 v50, v44, v47, v50
	v_pk_fma_f16 v71, v44, v48, v71
	v_pk_fma_f16 v72, v45, v47, v72
	v_pk_fma_f16 v73, v45, v48, v73
	s_waitcnt lgkmcnt(0)
	v_pk_fma_f16 v74, v59, v47, v74
	v_pk_fma_f16 v75, v59, v48, v75
	v_pk_fma_f16 v76, v60, v47, v76
	v_pk_fma_f16 v77, v60, v48, v77
	v_pk_fma_f16 v78, v61, v47, v78
	v_pk_fma_f16 v79, v61, v48, v79
	v_pk_fma_f16 v47, v62, v47, v80
	ds_read2_b64 v[42:45], v35 offset0:128 offset1:160
	v_pk_fma_f16 v46, v62, v48, v46
	ds_read2_b64 v[59:62], v35 offset0:192 offset1:224
	v_mul_u32_u24_sdwa v48, v49, s26 dst_sel:DWORD dst_unused:UNUSED_PAD src0_sel:WORD_0 src1_sel:DWORD
	v_mul_u32_u24_sdwa v49, v49, s26 dst_sel:DWORD dst_unused:UNUSED_PAD src0_sel:WORD_1 src1_sel:DWORD
	s_waitcnt lgkmcnt(1)
	v_pk_fma_f16 v67, v42, v48, v67
	v_pk_fma_f16 v68, v42, v49, v68
	v_pk_fma_f16 v69, v43, v48, v69
	v_pk_fma_f16 v70, v43, v49, v70
	v_pk_fma_f16 v50, v44, v48, v50
	v_pk_fma_f16 v71, v44, v49, v71
	v_pk_fma_f16 v72, v45, v48, v72
	v_pk_fma_f16 v73, v45, v49, v73
	s_waitcnt lgkmcnt(0)
	v_pk_fma_f16 v74, v59, v48, v74
	v_pk_fma_f16 v59, v59, v49, v75
	v_pk_fma_f16 v75, v60, v48, v76
	v_pk_fma_f16 v60, v60, v49, v77
	v_pk_fma_f16 v76, v61, v48, v78
	v_pk_fma_f16 v61, v61, v49, v79
	v_pk_fma_f16 v77, v62, v48, v47
	ds_read2_b64 v[42:45], v36 offset1:32
	v_pk_fma_f16 v62, v62, v49, v46
	ds_read2_b64 v[46:49], v36 offset0:64 offset1:96
	v_mul_u32_u24_sdwa v78, v63, s26 dst_sel:DWORD dst_unused:UNUSED_PAD src0_sel:WORD_0 src1_sel:DWORD
	v_mul_u32_u24_sdwa v63, v63, s26 dst_sel:DWORD dst_unused:UNUSED_PAD src0_sel:WORD_1 src1_sel:DWORD
	s_waitcnt lgkmcnt(1)
	;; [unrolled: 44-line block ×5, first 2 shown]
	v_pk_fma_f16 v63, v42, v6, v64
	v_pk_fma_f16 v64, v42, v7, v65
	;; [unrolled: 1-line block ×8, first 2 shown]
	s_waitcnt lgkmcnt(0)
	v_pk_fma_f16 v70, v46, v6, v71
	v_pk_fma_f16 v59, v46, v7, v59
	;; [unrolled: 1-line block ×7, first 2 shown]
	ds_read2_b64 v[42:45], v39 offset0:128 offset1:160
	v_pk_fma_f16 v96, v49, v7, v5
	ds_read2_b64 v[46:49], v39 offset0:192 offset1:224
	s_or_b32 s8, s6, 0x60
	s_mul_hi_i32 s9, s8, s15
	s_mul_i32 s8, s8, s15
	s_lshl_b64 s[8:9], s[8:9], 2
	v_mov_b32_e32 v83, s9
	v_add_co_u32_e32 v87, vcc, s8, v28
	v_mul_u32_u24_sdwa v97, v8, s26 dst_sel:DWORD dst_unused:UNUSED_PAD src0_sel:WORD_0 src1_sel:DWORD
	v_mul_u32_u24_sdwa v98, v8, s26 dst_sel:DWORD dst_unused:UNUSED_PAD src0_sel:WORD_1 src1_sel:DWORD
	v_addc_co_u32_e32 v88, vcc, v29, v83, vcc
	s_waitcnt lgkmcnt(1)
	v_pk_fma_f16 v99, v42, v97, v63
	v_pk_fma_f16 v100, v42, v98, v64
	;; [unrolled: 1-line block ×8, first 2 shown]
	s_waitcnt lgkmcnt(0)
	v_pk_fma_f16 v106, v46, v97, v70
	v_pk_fma_f16 v46, v46, v98, v59
	ds_read2_b64 v[5:8], v41 offset1:32
	ds_read2_b64 v[42:45], v41 offset0:64 offset1:96
	ds_read2_b64 v[59:62], v41 offset0:128 offset1:160
	;; [unrolled: 1-line block ×3, first 2 shown]
	ds_read2_b64 v[67:70], v40 offset1:32
	ds_read2_b64 v[71:74], v40 offset0:64 offset1:96
	ds_read2_b64 v[75:78], v40 offset0:128 offset1:160
	;; [unrolled: 1-line block ×3, first 2 shown]
	s_waitcnt lgkmcnt(0)
	s_barrier
	global_load_dwordx4 v[83:86], v[87:88], off
	s_nop 0
	global_load_dwordx4 v[87:90], v[87:88], off offset:512
	v_pk_fma_f16 v91, v47, v97, v91
	v_pk_fma_f16 v47, v47, v98, v92
	v_pk_fma_f16 v92, v48, v97, v93
	v_pk_fma_f16 v48, v48, v98, v94
	v_pk_fma_f16 v93, v49, v97, v95
	v_pk_fma_f16 v49, v49, v98, v96
	v_mul_u32_u24_sdwa v94, v1, s26 dst_sel:DWORD dst_unused:UNUSED_PAD src0_sel:WORD_0 src1_sel:DWORD
	v_mul_u32_u24_sdwa v1, v1, s26 dst_sel:DWORD dst_unused:UNUSED_PAD src0_sel:WORD_1 src1_sel:DWORD
	v_pk_fma_f16 v95, v5, v94, v99
	v_pk_fma_f16 v5, v5, v1, v100
	v_pk_fma_f16 v96, v6, v94, v101
	v_pk_fma_f16 v6, v6, v1, v102
	v_pk_fma_f16 v50, v7, v94, v50
	v_pk_fma_f16 v7, v7, v1, v103
	v_pk_fma_f16 v97, v8, v94, v104
	v_pk_fma_f16 v8, v8, v1, v105
	v_pk_fma_f16 v98, v42, v94, v106
	v_pk_fma_f16 v42, v42, v1, v46
	v_pk_fma_f16 v46, v43, v94, v91
	v_pk_fma_f16 v43, v43, v1, v47
	v_pk_fma_f16 v47, v44, v94, v92
	v_pk_fma_f16 v44, v44, v1, v48
	v_pk_fma_f16 v48, v45, v94, v93
	v_pk_fma_f16 v1, v45, v1, v49
	v_mul_u32_u24_sdwa v45, v2, s26 dst_sel:DWORD dst_unused:UNUSED_PAD src0_sel:WORD_0 src1_sel:DWORD
	v_mul_u32_u24_sdwa v2, v2, s26 dst_sel:DWORD dst_unused:UNUSED_PAD src0_sel:WORD_1 src1_sel:DWORD
	v_pk_fma_f16 v49, v59, v45, v95
	v_pk_fma_f16 v5, v59, v2, v5
	v_pk_fma_f16 v59, v60, v45, v96
	v_pk_fma_f16 v6, v60, v2, v6
	v_pk_fma_f16 v50, v61, v45, v50
	v_pk_fma_f16 v7, v61, v2, v7
	v_pk_fma_f16 v60, v62, v45, v97
	v_pk_fma_f16 v8, v62, v2, v8
	v_pk_fma_f16 v61, v63, v45, v98
	v_pk_fma_f16 v42, v63, v2, v42
	;; [unrolled: 18-line block ×4, first 2 shown]
	v_pk_fma_f16 v76, v80, v3, v46
	v_pk_fma_f16 v77, v80, v4, v43
	;; [unrolled: 1-line block ×6, first 2 shown]
	s_waitcnt vmcnt(1)
	ds_write_b128 v25, v[83:86]
	s_waitcnt vmcnt(0)
	ds_write_b128 v26, v[87:90]
	s_waitcnt lgkmcnt(0)
	s_barrier
	ds_read2_b64 v[42:45], v27 offset1:32
	ds_read_b128 v[46:49], v24 offset:384
	ds_read2_b64 v[59:62], v27 offset0:64 offset1:96
	ds_read_b128 v[63:66], v24 offset:400
	ds_read_b128 v[5:8], v24 offset:416
	;; [unrolled: 1-line block ×3, first 2 shown]
	s_waitcnt lgkmcnt(4)
	v_mul_u32_u24_sdwa v82, v46, s26 dst_sel:DWORD dst_unused:UNUSED_PAD src0_sel:WORD_0 src1_sel:DWORD
	v_mul_u32_u24_sdwa v46, v46, s26 dst_sel:DWORD dst_unused:UNUSED_PAD src0_sel:WORD_1 src1_sel:DWORD
	v_pk_fma_f16 v67, v42, v82, v67
	v_pk_fma_f16 v68, v42, v46, v68
	v_pk_fma_f16 v69, v43, v82, v69
	v_pk_fma_f16 v70, v43, v46, v70
	v_pk_fma_f16 v50, v44, v82, v50
	v_pk_fma_f16 v71, v44, v46, v71
	v_pk_fma_f16 v72, v45, v82, v72
	v_pk_fma_f16 v73, v45, v46, v73
	s_waitcnt lgkmcnt(3)
	v_pk_fma_f16 v74, v59, v82, v74
	v_pk_fma_f16 v75, v59, v46, v75
	v_pk_fma_f16 v76, v60, v82, v76
	v_pk_fma_f16 v77, v60, v46, v77
	v_pk_fma_f16 v78, v61, v82, v78
	v_pk_fma_f16 v79, v61, v46, v79
	v_pk_fma_f16 v80, v62, v82, v80
	ds_read2_b64 v[42:45], v27 offset0:128 offset1:160
	v_pk_fma_f16 v46, v62, v46, v81
	ds_read2_b64 v[59:62], v27 offset0:192 offset1:224
	v_mul_u32_u24_sdwa v81, v47, s26 dst_sel:DWORD dst_unused:UNUSED_PAD src0_sel:WORD_0 src1_sel:DWORD
	v_mul_u32_u24_sdwa v47, v47, s26 dst_sel:DWORD dst_unused:UNUSED_PAD src0_sel:WORD_1 src1_sel:DWORD
	s_waitcnt lgkmcnt(1)
	v_pk_fma_f16 v67, v42, v81, v67
	v_pk_fma_f16 v68, v42, v47, v68
	v_pk_fma_f16 v69, v43, v81, v69
	v_pk_fma_f16 v70, v43, v47, v70
	v_pk_fma_f16 v50, v44, v81, v50
	v_pk_fma_f16 v71, v44, v47, v71
	v_pk_fma_f16 v72, v45, v81, v72
	v_pk_fma_f16 v73, v45, v47, v73
	s_waitcnt lgkmcnt(0)
	v_pk_fma_f16 v74, v59, v81, v74
	v_pk_fma_f16 v75, v59, v47, v75
	v_pk_fma_f16 v76, v60, v81, v76
	v_pk_fma_f16 v77, v60, v47, v77
	v_pk_fma_f16 v78, v61, v81, v78
	v_pk_fma_f16 v79, v61, v47, v79
	v_pk_fma_f16 v80, v62, v81, v80
	ds_read2_b64 v[42:45], v35 offset1:32
	v_pk_fma_f16 v46, v62, v47, v46
	ds_read2_b64 v[59:62], v35 offset0:64 offset1:96
	v_mul_u32_u24_sdwa v47, v48, s26 dst_sel:DWORD dst_unused:UNUSED_PAD src0_sel:WORD_0 src1_sel:DWORD
	v_mul_u32_u24_sdwa v48, v48, s26 dst_sel:DWORD dst_unused:UNUSED_PAD src0_sel:WORD_1 src1_sel:DWORD
	s_waitcnt lgkmcnt(1)
	v_pk_fma_f16 v67, v42, v47, v67
	v_pk_fma_f16 v68, v42, v48, v68
	v_pk_fma_f16 v69, v43, v47, v69
	v_pk_fma_f16 v70, v43, v48, v70
	v_pk_fma_f16 v50, v44, v47, v50
	v_pk_fma_f16 v71, v44, v48, v71
	v_pk_fma_f16 v72, v45, v47, v72
	v_pk_fma_f16 v73, v45, v48, v73
	s_waitcnt lgkmcnt(0)
	v_pk_fma_f16 v74, v59, v47, v74
	v_pk_fma_f16 v75, v59, v48, v75
	v_pk_fma_f16 v76, v60, v47, v76
	v_pk_fma_f16 v77, v60, v48, v77
	v_pk_fma_f16 v78, v61, v47, v78
	v_pk_fma_f16 v79, v61, v48, v79
	v_pk_fma_f16 v47, v62, v47, v80
	ds_read2_b64 v[42:45], v35 offset0:128 offset1:160
	v_pk_fma_f16 v46, v62, v48, v46
	ds_read2_b64 v[59:62], v35 offset0:192 offset1:224
	v_mul_u32_u24_sdwa v48, v49, s26 dst_sel:DWORD dst_unused:UNUSED_PAD src0_sel:WORD_0 src1_sel:DWORD
	v_mul_u32_u24_sdwa v49, v49, s26 dst_sel:DWORD dst_unused:UNUSED_PAD src0_sel:WORD_1 src1_sel:DWORD
	s_waitcnt lgkmcnt(1)
	v_pk_fma_f16 v67, v42, v48, v67
	v_pk_fma_f16 v68, v42, v49, v68
	v_pk_fma_f16 v69, v43, v48, v69
	v_pk_fma_f16 v70, v43, v49, v70
	v_pk_fma_f16 v50, v44, v48, v50
	v_pk_fma_f16 v71, v44, v49, v71
	v_pk_fma_f16 v72, v45, v48, v72
	v_pk_fma_f16 v73, v45, v49, v73
	s_waitcnt lgkmcnt(0)
	v_pk_fma_f16 v74, v59, v48, v74
	v_pk_fma_f16 v59, v59, v49, v75
	v_pk_fma_f16 v75, v60, v48, v76
	v_pk_fma_f16 v60, v60, v49, v77
	v_pk_fma_f16 v76, v61, v48, v78
	v_pk_fma_f16 v61, v61, v49, v79
	v_pk_fma_f16 v77, v62, v48, v47
	ds_read2_b64 v[42:45], v36 offset1:32
	v_pk_fma_f16 v62, v62, v49, v46
	ds_read2_b64 v[46:49], v36 offset0:64 offset1:96
	v_mul_u32_u24_sdwa v78, v63, s26 dst_sel:DWORD dst_unused:UNUSED_PAD src0_sel:WORD_0 src1_sel:DWORD
	v_mul_u32_u24_sdwa v63, v63, s26 dst_sel:DWORD dst_unused:UNUSED_PAD src0_sel:WORD_1 src1_sel:DWORD
	s_waitcnt lgkmcnt(1)
	v_pk_fma_f16 v67, v42, v78, v67
	v_pk_fma_f16 v68, v42, v63, v68
	v_pk_fma_f16 v69, v43, v78, v69
	v_pk_fma_f16 v70, v43, v63, v70
	v_pk_fma_f16 v50, v44, v78, v50
	v_pk_fma_f16 v71, v44, v63, v71
	v_pk_fma_f16 v72, v45, v78, v72
	v_pk_fma_f16 v73, v45, v63, v73
	s_waitcnt lgkmcnt(0)
	v_pk_fma_f16 v74, v46, v78, v74
	v_pk_fma_f16 v59, v46, v63, v59
	v_pk_fma_f16 v75, v47, v78, v75
	v_pk_fma_f16 v60, v47, v63, v60
	v_pk_fma_f16 v76, v48, v78, v76
	v_pk_fma_f16 v61, v48, v63, v61
	v_pk_fma_f16 v77, v49, v78, v77
	ds_read2_b64 v[42:45], v36 offset0:128 offset1:160
	v_pk_fma_f16 v62, v49, v63, v62
	ds_read2_b64 v[46:49], v36 offset0:192 offset1:224
	v_mul_u32_u24_sdwa v63, v64, s26 dst_sel:DWORD dst_unused:UNUSED_PAD src0_sel:WORD_0 src1_sel:DWORD
	v_mul_u32_u24_sdwa v64, v64, s26 dst_sel:DWORD dst_unused:UNUSED_PAD src0_sel:WORD_1 src1_sel:DWORD
	s_waitcnt lgkmcnt(1)
	v_pk_fma_f16 v67, v42, v63, v67
	v_pk_fma_f16 v68, v42, v64, v68
	v_pk_fma_f16 v69, v43, v63, v69
	v_pk_fma_f16 v70, v43, v64, v70
	v_pk_fma_f16 v50, v44, v63, v50
	v_pk_fma_f16 v71, v44, v64, v71
	v_pk_fma_f16 v72, v45, v63, v72
	v_pk_fma_f16 v73, v45, v64, v73
	s_waitcnt lgkmcnt(0)
	v_pk_fma_f16 v74, v46, v63, v74
	v_pk_fma_f16 v59, v46, v64, v59
	v_pk_fma_f16 v75, v47, v63, v75
	v_pk_fma_f16 v60, v47, v64, v60
	v_pk_fma_f16 v76, v48, v63, v76
	v_pk_fma_f16 v61, v48, v64, v61
	v_pk_fma_f16 v63, v49, v63, v77
	ds_read2_b64 v[42:45], v37 offset1:32
	v_pk_fma_f16 v62, v49, v64, v62
	ds_read2_b64 v[46:49], v37 offset0:64 offset1:96
	v_mul_u32_u24_sdwa v64, v65, s26 dst_sel:DWORD dst_unused:UNUSED_PAD src0_sel:WORD_0 src1_sel:DWORD
	v_mul_u32_u24_sdwa v65, v65, s26 dst_sel:DWORD dst_unused:UNUSED_PAD src0_sel:WORD_1 src1_sel:DWORD
	s_waitcnt lgkmcnt(1)
	v_pk_fma_f16 v67, v42, v64, v67
	v_pk_fma_f16 v68, v42, v65, v68
	v_pk_fma_f16 v69, v43, v64, v69
	v_pk_fma_f16 v70, v43, v65, v70
	v_pk_fma_f16 v50, v44, v64, v50
	v_pk_fma_f16 v71, v44, v65, v71
	v_pk_fma_f16 v72, v45, v64, v72
	v_pk_fma_f16 v73, v45, v65, v73
	s_waitcnt lgkmcnt(0)
	v_pk_fma_f16 v74, v46, v64, v74
	v_pk_fma_f16 v59, v46, v65, v59
	v_pk_fma_f16 v75, v47, v64, v75
	v_pk_fma_f16 v60, v47, v65, v60
	v_pk_fma_f16 v76, v48, v64, v76
	v_pk_fma_f16 v61, v48, v65, v61
	v_pk_fma_f16 v63, v49, v64, v63
	ds_read2_b64 v[42:45], v37 offset0:128 offset1:160
	v_pk_fma_f16 v62, v49, v65, v62
	ds_read2_b64 v[46:49], v37 offset0:192 offset1:224
	v_mul_u32_u24_sdwa v64, v66, s26 dst_sel:DWORD dst_unused:UNUSED_PAD src0_sel:WORD_0 src1_sel:DWORD
	v_mul_u32_u24_sdwa v65, v66, s26 dst_sel:DWORD dst_unused:UNUSED_PAD src0_sel:WORD_1 src1_sel:DWORD
	s_waitcnt lgkmcnt(1)
	v_pk_fma_f16 v66, v42, v64, v67
	v_pk_fma_f16 v67, v42, v65, v68
	v_pk_fma_f16 v68, v43, v64, v69
	v_pk_fma_f16 v69, v43, v65, v70
	v_pk_fma_f16 v50, v44, v64, v50
	v_pk_fma_f16 v70, v44, v65, v71
	v_pk_fma_f16 v71, v45, v64, v72
	v_pk_fma_f16 v72, v45, v65, v73
	s_waitcnt lgkmcnt(0)
	v_pk_fma_f16 v73, v46, v64, v74
	v_pk_fma_f16 v59, v46, v65, v59
	v_pk_fma_f16 v74, v47, v64, v75
	v_pk_fma_f16 v60, v47, v65, v60
	v_pk_fma_f16 v75, v48, v64, v76
	v_pk_fma_f16 v61, v48, v65, v61
	v_pk_fma_f16 v63, v49, v64, v63
	ds_read2_b64 v[42:45], v38 offset1:32
	v_pk_fma_f16 v62, v49, v65, v62
	ds_read2_b64 v[46:49], v38 offset0:64 offset1:96
	v_mul_u32_u24_sdwa v64, v5, s26 dst_sel:DWORD dst_unused:UNUSED_PAD src0_sel:WORD_0 src1_sel:DWORD
	v_mul_u32_u24_sdwa v5, v5, s26 dst_sel:DWORD dst_unused:UNUSED_PAD src0_sel:WORD_1 src1_sel:DWORD
	s_waitcnt lgkmcnt(1)
	v_pk_fma_f16 v65, v42, v64, v66
	v_pk_fma_f16 v66, v42, v5, v67
	v_pk_fma_f16 v67, v43, v64, v68
	v_pk_fma_f16 v68, v43, v5, v69
	v_pk_fma_f16 v50, v44, v64, v50
	v_pk_fma_f16 v69, v44, v5, v70
	v_pk_fma_f16 v70, v45, v64, v71
	v_pk_fma_f16 v71, v45, v5, v72
	s_waitcnt lgkmcnt(0)
	v_pk_fma_f16 v72, v46, v64, v73
	v_pk_fma_f16 v59, v46, v5, v59
	v_pk_fma_f16 v73, v47, v64, v74
	v_pk_fma_f16 v60, v47, v5, v60
	v_pk_fma_f16 v74, v48, v64, v75
	v_pk_fma_f16 v61, v48, v5, v61
	v_pk_fma_f16 v63, v49, v64, v63
	ds_read2_b64 v[42:45], v38 offset0:128 offset1:160
	v_pk_fma_f16 v5, v49, v5, v62
	ds_read2_b64 v[46:49], v38 offset0:192 offset1:224
	v_mul_u32_u24_sdwa v62, v6, s26 dst_sel:DWORD dst_unused:UNUSED_PAD src0_sel:WORD_0 src1_sel:DWORD
	v_mul_u32_u24_sdwa v6, v6, s26 dst_sel:DWORD dst_unused:UNUSED_PAD src0_sel:WORD_1 src1_sel:DWORD
	s_waitcnt lgkmcnt(1)
	v_pk_fma_f16 v64, v42, v62, v65
	v_pk_fma_f16 v65, v42, v6, v66
	v_pk_fma_f16 v66, v43, v62, v67
	v_pk_fma_f16 v67, v43, v6, v68
	v_pk_fma_f16 v50, v44, v62, v50
	v_pk_fma_f16 v68, v44, v6, v69
	v_pk_fma_f16 v69, v45, v62, v70
	v_pk_fma_f16 v70, v45, v6, v71
	s_waitcnt lgkmcnt(0)
	v_pk_fma_f16 v71, v46, v62, v72
	v_pk_fma_f16 v59, v46, v6, v59
	v_pk_fma_f16 v72, v47, v62, v73
	v_pk_fma_f16 v60, v47, v6, v60
	v_pk_fma_f16 v73, v48, v62, v74
	v_pk_fma_f16 v61, v48, v6, v61
	v_pk_fma_f16 v62, v49, v62, v63
	ds_read2_b64 v[42:45], v39 offset1:32
	v_pk_fma_f16 v5, v49, v6, v5
	ds_read2_b64 v[46:49], v39 offset0:64 offset1:96
	v_mul_u32_u24_sdwa v6, v7, s26 dst_sel:DWORD dst_unused:UNUSED_PAD src0_sel:WORD_0 src1_sel:DWORD
	v_mul_u32_u24_sdwa v7, v7, s26 dst_sel:DWORD dst_unused:UNUSED_PAD src0_sel:WORD_1 src1_sel:DWORD
	s_waitcnt lgkmcnt(1)
	v_pk_fma_f16 v63, v42, v6, v64
	v_pk_fma_f16 v64, v42, v7, v65
	;; [unrolled: 1-line block ×8, first 2 shown]
	s_waitcnt lgkmcnt(0)
	v_pk_fma_f16 v70, v46, v6, v71
	v_pk_fma_f16 v59, v46, v7, v59
	;; [unrolled: 1-line block ×7, first 2 shown]
	ds_read2_b64 v[42:45], v39 offset0:128 offset1:160
	v_pk_fma_f16 v96, v49, v7, v5
	ds_read2_b64 v[46:49], v39 offset0:192 offset1:224
	s_or_b32 s8, s6, 0x70
	s_mul_hi_i32 s9, s8, s15
	s_mul_i32 s8, s8, s15
	s_lshl_b64 s[8:9], s[8:9], 2
	v_mov_b32_e32 v83, s9
	v_add_co_u32_e32 v87, vcc, s8, v28
	v_mul_u32_u24_sdwa v97, v8, s26 dst_sel:DWORD dst_unused:UNUSED_PAD src0_sel:WORD_0 src1_sel:DWORD
	v_mul_u32_u24_sdwa v98, v8, s26 dst_sel:DWORD dst_unused:UNUSED_PAD src0_sel:WORD_1 src1_sel:DWORD
	v_addc_co_u32_e32 v88, vcc, v29, v83, vcc
	s_waitcnt lgkmcnt(1)
	v_pk_fma_f16 v99, v42, v97, v63
	v_pk_fma_f16 v100, v42, v98, v64
	;; [unrolled: 1-line block ×8, first 2 shown]
	s_waitcnt lgkmcnt(0)
	v_pk_fma_f16 v106, v46, v97, v70
	v_pk_fma_f16 v46, v46, v98, v59
	ds_read2_b64 v[5:8], v41 offset1:32
	ds_read2_b64 v[42:45], v41 offset0:64 offset1:96
	ds_read2_b64 v[59:62], v41 offset0:128 offset1:160
	;; [unrolled: 1-line block ×3, first 2 shown]
	ds_read2_b64 v[67:70], v40 offset1:32
	ds_read2_b64 v[71:74], v40 offset0:64 offset1:96
	ds_read2_b64 v[75:78], v40 offset0:128 offset1:160
	;; [unrolled: 1-line block ×3, first 2 shown]
	s_waitcnt lgkmcnt(0)
	s_barrier
	global_load_dwordx4 v[83:86], v[87:88], off
	s_nop 0
	global_load_dwordx4 v[87:90], v[87:88], off offset:512
	v_pk_fma_f16 v91, v47, v97, v91
	v_pk_fma_f16 v47, v47, v98, v92
	v_pk_fma_f16 v92, v48, v97, v93
	v_pk_fma_f16 v48, v48, v98, v94
	v_pk_fma_f16 v93, v49, v97, v95
	v_pk_fma_f16 v49, v49, v98, v96
	v_mul_u32_u24_sdwa v94, v1, s26 dst_sel:DWORD dst_unused:UNUSED_PAD src0_sel:WORD_0 src1_sel:DWORD
	v_mul_u32_u24_sdwa v1, v1, s26 dst_sel:DWORD dst_unused:UNUSED_PAD src0_sel:WORD_1 src1_sel:DWORD
	v_pk_fma_f16 v95, v5, v94, v99
	v_pk_fma_f16 v5, v5, v1, v100
	v_pk_fma_f16 v96, v6, v94, v101
	v_pk_fma_f16 v6, v6, v1, v102
	v_pk_fma_f16 v50, v7, v94, v50
	v_pk_fma_f16 v7, v7, v1, v103
	v_pk_fma_f16 v97, v8, v94, v104
	v_pk_fma_f16 v8, v8, v1, v105
	v_pk_fma_f16 v98, v42, v94, v106
	v_pk_fma_f16 v42, v42, v1, v46
	v_pk_fma_f16 v46, v43, v94, v91
	v_pk_fma_f16 v43, v43, v1, v47
	v_pk_fma_f16 v47, v44, v94, v92
	v_pk_fma_f16 v44, v44, v1, v48
	v_pk_fma_f16 v48, v45, v94, v93
	v_pk_fma_f16 v1, v45, v1, v49
	v_mul_u32_u24_sdwa v45, v2, s26 dst_sel:DWORD dst_unused:UNUSED_PAD src0_sel:WORD_0 src1_sel:DWORD
	v_mul_u32_u24_sdwa v2, v2, s26 dst_sel:DWORD dst_unused:UNUSED_PAD src0_sel:WORD_1 src1_sel:DWORD
	v_pk_fma_f16 v49, v59, v45, v95
	v_pk_fma_f16 v5, v59, v2, v5
	v_pk_fma_f16 v59, v60, v45, v96
	v_pk_fma_f16 v6, v60, v2, v6
	v_pk_fma_f16 v50, v61, v45, v50
	v_pk_fma_f16 v7, v61, v2, v7
	v_pk_fma_f16 v60, v62, v45, v97
	v_pk_fma_f16 v8, v62, v2, v8
	v_pk_fma_f16 v61, v63, v45, v98
	v_pk_fma_f16 v42, v63, v2, v42
	;; [unrolled: 18-line block ×4, first 2 shown]
	v_pk_fma_f16 v76, v80, v3, v46
	v_pk_fma_f16 v77, v80, v4, v43
	;; [unrolled: 1-line block ×6, first 2 shown]
	s_waitcnt vmcnt(1)
	ds_write_b128 v25, v[83:86]
	s_waitcnt vmcnt(0)
	ds_write_b128 v26, v[87:90]
	s_waitcnt lgkmcnt(0)
	s_barrier
	ds_read2_b64 v[42:45], v27 offset1:32
	ds_read_b128 v[46:49], v24 offset:448
	ds_read2_b64 v[59:62], v27 offset0:64 offset1:96
	ds_read_b128 v[63:66], v24 offset:464
	ds_read_b128 v[5:8], v24 offset:480
	;; [unrolled: 1-line block ×3, first 2 shown]
	s_waitcnt lgkmcnt(4)
	v_mul_u32_u24_sdwa v82, v46, s26 dst_sel:DWORD dst_unused:UNUSED_PAD src0_sel:WORD_0 src1_sel:DWORD
	v_mul_u32_u24_sdwa v46, v46, s26 dst_sel:DWORD dst_unused:UNUSED_PAD src0_sel:WORD_1 src1_sel:DWORD
	v_pk_fma_f16 v67, v42, v82, v67
	v_pk_fma_f16 v68, v42, v46, v68
	v_pk_fma_f16 v69, v43, v82, v69
	v_pk_fma_f16 v70, v43, v46, v70
	v_pk_fma_f16 v50, v44, v82, v50
	v_pk_fma_f16 v71, v44, v46, v71
	v_pk_fma_f16 v72, v45, v82, v72
	v_pk_fma_f16 v73, v45, v46, v73
	s_waitcnt lgkmcnt(3)
	v_pk_fma_f16 v74, v59, v82, v74
	v_pk_fma_f16 v75, v59, v46, v75
	v_pk_fma_f16 v76, v60, v82, v76
	v_pk_fma_f16 v77, v60, v46, v77
	v_pk_fma_f16 v78, v61, v82, v78
	v_pk_fma_f16 v79, v61, v46, v79
	v_pk_fma_f16 v80, v62, v82, v80
	ds_read2_b64 v[42:45], v27 offset0:128 offset1:160
	v_pk_fma_f16 v46, v62, v46, v81
	ds_read2_b64 v[59:62], v27 offset0:192 offset1:224
	v_mul_u32_u24_sdwa v81, v47, s26 dst_sel:DWORD dst_unused:UNUSED_PAD src0_sel:WORD_0 src1_sel:DWORD
	v_mul_u32_u24_sdwa v47, v47, s26 dst_sel:DWORD dst_unused:UNUSED_PAD src0_sel:WORD_1 src1_sel:DWORD
	s_waitcnt lgkmcnt(1)
	v_pk_fma_f16 v67, v42, v81, v67
	v_pk_fma_f16 v68, v42, v47, v68
	v_pk_fma_f16 v69, v43, v81, v69
	v_pk_fma_f16 v70, v43, v47, v70
	v_pk_fma_f16 v50, v44, v81, v50
	v_pk_fma_f16 v71, v44, v47, v71
	v_pk_fma_f16 v72, v45, v81, v72
	v_pk_fma_f16 v73, v45, v47, v73
	s_waitcnt lgkmcnt(0)
	v_pk_fma_f16 v74, v59, v81, v74
	v_pk_fma_f16 v75, v59, v47, v75
	v_pk_fma_f16 v76, v60, v81, v76
	v_pk_fma_f16 v77, v60, v47, v77
	v_pk_fma_f16 v78, v61, v81, v78
	v_pk_fma_f16 v79, v61, v47, v79
	v_pk_fma_f16 v80, v62, v81, v80
	ds_read2_b64 v[42:45], v35 offset1:32
	v_pk_fma_f16 v46, v62, v47, v46
	ds_read2_b64 v[59:62], v35 offset0:64 offset1:96
	v_mul_u32_u24_sdwa v47, v48, s26 dst_sel:DWORD dst_unused:UNUSED_PAD src0_sel:WORD_0 src1_sel:DWORD
	v_mul_u32_u24_sdwa v48, v48, s26 dst_sel:DWORD dst_unused:UNUSED_PAD src0_sel:WORD_1 src1_sel:DWORD
	s_waitcnt lgkmcnt(1)
	v_pk_fma_f16 v67, v42, v47, v67
	v_pk_fma_f16 v68, v42, v48, v68
	v_pk_fma_f16 v69, v43, v47, v69
	v_pk_fma_f16 v70, v43, v48, v70
	v_pk_fma_f16 v50, v44, v47, v50
	v_pk_fma_f16 v71, v44, v48, v71
	v_pk_fma_f16 v72, v45, v47, v72
	v_pk_fma_f16 v73, v45, v48, v73
	s_waitcnt lgkmcnt(0)
	v_pk_fma_f16 v74, v59, v47, v74
	v_pk_fma_f16 v75, v59, v48, v75
	v_pk_fma_f16 v76, v60, v47, v76
	v_pk_fma_f16 v77, v60, v48, v77
	v_pk_fma_f16 v78, v61, v47, v78
	v_pk_fma_f16 v79, v61, v48, v79
	v_pk_fma_f16 v47, v62, v47, v80
	ds_read2_b64 v[42:45], v35 offset0:128 offset1:160
	v_pk_fma_f16 v46, v62, v48, v46
	ds_read2_b64 v[59:62], v35 offset0:192 offset1:224
	v_mul_u32_u24_sdwa v35, v49, s26 dst_sel:DWORD dst_unused:UNUSED_PAD src0_sel:WORD_0 src1_sel:DWORD
	v_mul_u32_u24_sdwa v48, v49, s26 dst_sel:DWORD dst_unused:UNUSED_PAD src0_sel:WORD_1 src1_sel:DWORD
	s_waitcnt lgkmcnt(1)
	v_pk_fma_f16 v67, v42, v35, v67
	v_pk_fma_f16 v68, v42, v48, v68
	v_pk_fma_f16 v69, v43, v35, v69
	v_pk_fma_f16 v70, v43, v48, v70
	v_pk_fma_f16 v50, v44, v35, v50
	v_pk_fma_f16 v71, v44, v48, v71
	v_pk_fma_f16 v72, v45, v35, v72
	v_pk_fma_f16 v73, v45, v48, v73
	s_waitcnt lgkmcnt(0)
	v_pk_fma_f16 v74, v59, v35, v74
	v_pk_fma_f16 v59, v59, v48, v75
	v_pk_fma_f16 v75, v60, v35, v76
	v_pk_fma_f16 v60, v60, v48, v77
	v_pk_fma_f16 v76, v61, v35, v78
	v_pk_fma_f16 v61, v61, v48, v79
	v_pk_fma_f16 v35, v62, v35, v47
	ds_read2_b64 v[42:45], v36 offset1:32
	v_pk_fma_f16 v62, v62, v48, v46
	ds_read2_b64 v[46:49], v36 offset0:64 offset1:96
	v_mul_u32_u24_sdwa v77, v63, s26 dst_sel:DWORD dst_unused:UNUSED_PAD src0_sel:WORD_0 src1_sel:DWORD
	v_mul_u32_u24_sdwa v63, v63, s26 dst_sel:DWORD dst_unused:UNUSED_PAD src0_sel:WORD_1 src1_sel:DWORD
	s_waitcnt lgkmcnt(1)
	;; [unrolled: 44-line block ×7, first 2 shown]
	v_pk_fma_f16 v41, v5, v2, v41
	v_pk_fma_f16 v42, v5, v3, v42
	;; [unrolled: 1-line block ×8, first 2 shown]
	s_waitcnt lgkmcnt(0)
	v_pk_fma_f16 v68, v36, v3, v47
	v_pk_fma_f16 v69, v37, v3, v48
	ds_read2_b64 v[5:8], v40 offset0:128 offset1:160
	ds_read2_b64 v[47:50], v40 offset0:192 offset1:224
	s_waitcnt lgkmcnt(0)
	s_barrier
	s_load_dword s8, s[0:1], 0x4
	v_pk_fma_f16 v63, v35, v2, v63
	v_pk_fma_f16 v67, v35, v3, v46
	;; [unrolled: 1-line block ×4, first 2 shown]
	s_waitcnt lgkmcnt(0)
	s_lshl_b32 s8, s8, 7
	v_pk_fma_f16 v2, v38, v2, v39
	v_pk_fma_f16 v1, v38, v3, v1
	v_mul_u32_u24_sdwa v3, v4, s26 dst_sel:DWORD dst_unused:UNUSED_PAD src0_sel:WORD_0 src1_sel:DWORD
	v_mul_u32_u24_sdwa v4, v4, s26 dst_sel:DWORD dst_unused:UNUSED_PAD src0_sel:WORD_1 src1_sel:DWORD
	s_add_i32 s6, s8, s6
	v_pk_fma_f16 v39, v5, v3, v41
	v_pk_fma_f16 v35, v5, v4, v42
	;; [unrolled: 1-line block ×15, first 2 shown]
	s_cmp_ge_i32 s6, s28
	v_pk_fma_f16 v5, v50, v4, v1
	s_cbranch_scc1 .LBB25_11
; %bb.49:                               ;   in Loop: Header=BB25_16 Depth=1
	v_mov_b32_e32 v50, v14
	v_mov_b32_e32 v48, v15
	;; [unrolled: 1-line block ×4, first 2 shown]
	s_branch .LBB25_16
.LBB25_50:
	v_mov_b32_e32 v4, v2
	v_mov_b32_e32 v3, v1
	v_cmp_gt_i32_e32 vcc, s2, v16
	s_and_saveexec_b64 s[0:1], vcc
	s_cbranch_execz .LBB25_13
.LBB25_51:
	s_load_dword s6, s[4:5], 0xd4
	v_mov_b32_e32 v9, 1.0
	s_waitcnt lgkmcnt(0)
	s_cmp_lg_u32 s6, 1
	s_cselect_b64 s[0:1], -1, 0
	s_cmp_eq_u32 s6, 1
	s_cselect_b64 s[4:5], -1, 0
	s_and_b64 vcc, exec, s[0:1]
	s_cbranch_vccnz .LBB25_53
; %bb.52:
	v_div_scale_f32 v9, s[8:9], v1, v1, 1.0
	v_div_scale_f32 v10, vcc, 1.0, v1, 1.0
	v_rcp_f32_e32 v11, v9
	v_fma_f32 v12, -v9, v11, 1.0
	v_fmac_f32_e32 v11, v12, v11
	v_mul_f32_e32 v12, v10, v11
	v_fma_f32 v13, -v9, v12, v10
	v_fmac_f32_e32 v12, v13, v11
	v_fma_f32 v9, -v9, v12, v10
	v_div_fmas_f32 v9, v9, v11, v12
	v_div_fixup_f32 v9, v9, v1, 1.0
.LBB25_53:
	s_mul_i32 s33, s33, s2
	v_add_u32_e32 v1, s33, v16
	v_mul_lo_u32 v1, v1, s3
	v_cmp_eq_u32_e32 vcc, 0, v0
	v_cvt_f32_f16_sdwa v10, v46 dst_sel:DWORD dst_unused:UNUSED_PAD src0_sel:WORD_1
	v_cvt_f32_f16_e32 v11, v46
	v_add3_u32 v0, s29, v17, v1
	v_mul_lo_u32 v0, s6, v0
	v_cvt_f32_f16_e32 v17, v39
	v_cvt_f32_f16_sdwa v1, v39 dst_sel:DWORD dst_unused:UNUSED_PAD src0_sel:WORD_1
	v_mul_f32_e32 v13, v9, v10
	v_add_u32_e32 v0, s7, v0
	v_lshl_add_u32 v16, v0, 9, v18
	v_mul_f32_e32 v10, v9, v17
	v_mov_b32_e32 v17, 0
	v_lshlrev_b64 v[19:20], 2, v[16:17]
	s_and_b64 s[0:1], vcc, s[0:1]
	v_mul_f32_e32 v12, v9, v11
	v_mul_f32_e32 v11, v9, v1
	v_mov_b32_e32 v1, s21
	v_add_co_u32_e32 v19, vcc, s20, v19
	v_addc_co_u32_e32 v20, vcc, v1, v20, vcc
	global_store_dwordx4 v[19:20], v[10:13], off
	v_cvt_f32_f16_e32 v19, v44
	v_cvt_f32_f16_e32 v10, v45
	v_cvt_f32_f16_sdwa v1, v45 dst_sel:DWORD dst_unused:UNUSED_PAD src0_sel:WORD_1
	v_cvt_f32_f16_sdwa v11, v44 dst_sel:DWORD dst_unused:UNUSED_PAD src0_sel:WORD_1
	v_mov_b32_e32 v20, v17
	v_mul_f32_e32 v12, v9, v10
	v_mul_f32_e32 v10, v9, v19
	v_add_u32_e32 v19, 0x80, v16
	v_lshlrev_b64 v[19:20], 2, v[19:20]
	v_mul_f32_e32 v13, v9, v1
	v_mov_b32_e32 v1, s21
	v_add_co_u32_e32 v19, vcc, s20, v19
	v_mul_f32_e32 v11, v9, v11
	v_addc_co_u32_e32 v20, vcc, v1, v20, vcc
	global_store_dwordx4 v[19:20], v[10:13], off
	v_cvt_f32_f16_e32 v19, v42
	v_cvt_f32_f16_e32 v10, v43
	v_cvt_f32_f16_sdwa v1, v43 dst_sel:DWORD dst_unused:UNUSED_PAD src0_sel:WORD_1
	v_cvt_f32_f16_sdwa v11, v42 dst_sel:DWORD dst_unused:UNUSED_PAD src0_sel:WORD_1
	v_mov_b32_e32 v20, v17
	v_mul_f32_e32 v12, v9, v10
	v_mul_f32_e32 v10, v9, v19
	v_add_u32_e32 v19, 0x100, v16
	v_lshlrev_b64 v[19:20], 2, v[19:20]
	v_mul_f32_e32 v13, v9, v1
	v_mov_b32_e32 v1, s21
	v_add_co_u32_e32 v19, vcc, s20, v19
	v_mul_f32_e32 v11, v9, v11
	v_addc_co_u32_e32 v20, vcc, v1, v20, vcc
	v_cvt_f32_f16_sdwa v1, v41 dst_sel:DWORD dst_unused:UNUSED_PAD src0_sel:WORD_1
	global_store_dwordx4 v[19:20], v[10:13], off
	v_cvt_f32_f16_e32 v19, v40
	v_cvt_f32_f16_e32 v10, v41
	v_cvt_f32_f16_sdwa v13, v40 dst_sel:DWORD dst_unused:UNUSED_PAD src0_sel:WORD_1
	v_add_u32_e32 v16, 0x180, v16
	v_lshlrev_b64 v[16:17], 2, v[16:17]
	v_mul_f32_e32 v12, v9, v1
	v_mov_b32_e32 v1, s21
	v_add_co_u32_e32 v16, vcc, s20, v16
	v_mul_f32_e32 v11, v9, v10
	v_mul_f32_e32 v10, v9, v13
	v_mul_f32_e32 v9, v9, v19
	v_addc_co_u32_e32 v17, vcc, v1, v17, vcc
	global_store_dwordx4 v[16:17], v[9:12], off
	s_and_saveexec_b64 s[2:3], s[0:1]
	s_cbranch_execz .LBB25_55
; %bb.54:
	v_ashrrev_i32_e32 v1, 31, v0
	v_lshlrev_b64 v[9:10], 3, v[0:1]
	v_mov_b32_e32 v1, s23
	v_add_co_u32_e32 v9, vcc, s22, v9
	v_addc_co_u32_e32 v10, vcc, v1, v10, vcc
	v_mov_b32_e32 v11, v14
	v_mov_b32_e32 v12, v3
	global_store_dwordx2 v[9:10], v[11:12], off
.LBB25_55:
	s_or_b64 exec, exec, s[2:3]
	s_andn2_b64 vcc, exec, s[4:5]
	v_mov_b32_e32 v1, 1.0
	s_cbranch_vccnz .LBB25_57
; %bb.56:
	v_div_scale_f32 v1, s[2:3], v2, v2, 1.0
	v_div_scale_f32 v3, vcc, 1.0, v2, 1.0
	v_rcp_f32_e32 v9, v1
	v_fma_f32 v10, -v1, v9, 1.0
	v_fmac_f32_e32 v9, v10, v9
	v_mul_f32_e32 v10, v3, v9
	v_fma_f32 v11, -v1, v10, v3
	v_fmac_f32_e32 v10, v11, v9
	v_fma_f32 v1, -v1, v10, v3
	v_div_fmas_f32 v1, v1, v9, v10
	v_div_fixup_f32 v1, v1, v2, 1.0
.LBB25_57:
	v_cvt_f32_f16_sdwa v3, v38 dst_sel:DWORD dst_unused:UNUSED_PAD src0_sel:WORD_1
	v_cvt_f32_f16_e32 v9, v38
	v_cvt_f32_f16_e32 v13, v35
	v_add_u32_e32 v0, s6, v0
	v_lshl_add_u32 v2, v0, 9, v18
	v_cvt_f32_f16_sdwa v10, v35 dst_sel:DWORD dst_unused:UNUSED_PAD src0_sel:WORD_1
	v_mul_f32_e32 v12, v1, v3
	v_mov_b32_e32 v3, 0
	v_mul_f32_e32 v11, v1, v9
	v_mul_f32_e32 v9, v1, v13
	v_lshlrev_b64 v[13:14], 2, v[2:3]
	v_mov_b32_e32 v16, s21
	v_add_co_u32_e32 v13, vcc, s20, v13
	v_mul_f32_e32 v10, v1, v10
	v_addc_co_u32_e32 v14, vcc, v16, v14, vcc
	global_store_dwordx4 v[13:14], v[9:12], off
	v_cvt_f32_f16_sdwa v13, v36 dst_sel:DWORD dst_unused:UNUSED_PAD src0_sel:WORD_1
	v_cvt_f32_f16_sdwa v9, v37 dst_sel:DWORD dst_unused:UNUSED_PAD src0_sel:WORD_1
	v_cvt_f32_f16_e32 v10, v37
	v_cvt_f32_f16_e32 v14, v36
	v_mul_f32_e32 v12, v1, v9
	v_mul_f32_e32 v11, v1, v10
	;; [unrolled: 1-line block ×4, first 2 shown]
	v_add_u32_e32 v13, 0x80, v2
	v_mov_b32_e32 v14, v3
	v_lshlrev_b64 v[13:14], 2, v[13:14]
	v_add_co_u32_e32 v13, vcc, s20, v13
	v_addc_co_u32_e32 v14, vcc, v16, v14, vcc
	global_store_dwordx4 v[13:14], v[9:12], off
	v_mov_b32_e32 v13, s21
	v_cvt_f32_f16_sdwa v9, v8 dst_sel:DWORD dst_unused:UNUSED_PAD src0_sel:WORD_1
	v_cvt_f32_f16_e32 v8, v8
	v_cvt_f32_f16_sdwa v11, v7 dst_sel:DWORD dst_unused:UNUSED_PAD src0_sel:WORD_1
	v_cvt_f32_f16_e32 v7, v7
	v_mul_f32_e32 v10, v1, v9
	v_mul_f32_e32 v9, v1, v8
	;; [unrolled: 1-line block ×3, first 2 shown]
	v_add_u32_e32 v11, 0x100, v2
	v_mov_b32_e32 v12, v3
	v_lshlrev_b64 v[11:12], 2, v[11:12]
	v_mul_f32_e32 v7, v1, v7
	v_add_co_u32_e32 v11, vcc, s20, v11
	v_addc_co_u32_e32 v12, vcc, v13, v12, vcc
	global_store_dwordx4 v[11:12], v[7:10], off
	v_add_u32_e32 v2, 0x180, v2
	v_cvt_f32_f16_sdwa v7, v5 dst_sel:DWORD dst_unused:UNUSED_PAD src0_sel:WORD_1
	v_cvt_f32_f16_e32 v5, v5
	v_cvt_f32_f16_sdwa v9, v6 dst_sel:DWORD dst_unused:UNUSED_PAD src0_sel:WORD_1
	v_cvt_f32_f16_e32 v10, v6
	v_mul_f32_e32 v8, v1, v7
	v_mul_f32_e32 v7, v1, v5
	v_mul_f32_e32 v6, v1, v9
	v_mul_f32_e32 v5, v1, v10
	v_lshlrev_b64 v[1:2], 2, v[2:3]
	v_mov_b32_e32 v3, s21
	v_add_co_u32_e32 v1, vcc, s20, v1
	v_addc_co_u32_e32 v2, vcc, v3, v2, vcc
	global_store_dwordx4 v[1:2], v[5:8], off
	s_and_b64 exec, exec, s[0:1]
	s_cbranch_execz .LBB25_13
; %bb.58:
	v_ashrrev_i32_e32 v1, 31, v0
	v_lshlrev_b64 v[0:1], 3, v[0:1]
	v_mov_b32_e32 v2, s23
	v_add_co_u32_e32 v0, vcc, s22, v0
	v_addc_co_u32_e32 v1, vcc, v2, v1, vcc
	v_mov_b32_e32 v3, v15
	global_store_dwordx2 v[0:1], v[3:4], off
	s_endpgm
	.section	.rodata,"a",@progbits
	.p2align	6, 0x0
	.amdhsa_kernel _ZL15flash_attn_tileILi576ELi512ELi8ELi4ELb1EEvPKcS1_S1_S1_S1_PKiPfP15HIP_vector_typeIfLj2EEffffjfiS5_IjLj3EEiiiiiiiiiiiliiliiiiil
		.amdhsa_group_segment_fixed_size 63488
		.amdhsa_private_segment_fixed_size 0
		.amdhsa_kernarg_size 464
		.amdhsa_user_sgpr_count 6
		.amdhsa_user_sgpr_private_segment_buffer 1
		.amdhsa_user_sgpr_dispatch_ptr 0
		.amdhsa_user_sgpr_queue_ptr 0
		.amdhsa_user_sgpr_kernarg_segment_ptr 1
		.amdhsa_user_sgpr_dispatch_id 0
		.amdhsa_user_sgpr_flat_scratch_init 0
		.amdhsa_user_sgpr_private_segment_size 0
		.amdhsa_uses_dynamic_stack 0
		.amdhsa_system_sgpr_private_segment_wavefront_offset 0
		.amdhsa_system_sgpr_workgroup_id_x 1
		.amdhsa_system_sgpr_workgroup_id_y 1
		.amdhsa_system_sgpr_workgroup_id_z 1
		.amdhsa_system_sgpr_workgroup_info 0
		.amdhsa_system_vgpr_workitem_id 1
		.amdhsa_next_free_vgpr 109
		.amdhsa_next_free_sgpr 98
		.amdhsa_reserve_vcc 1
		.amdhsa_reserve_flat_scratch 0
		.amdhsa_float_round_mode_32 0
		.amdhsa_float_round_mode_16_64 0
		.amdhsa_float_denorm_mode_32 3
		.amdhsa_float_denorm_mode_16_64 3
		.amdhsa_dx10_clamp 1
		.amdhsa_ieee_mode 1
		.amdhsa_fp16_overflow 0
		.amdhsa_exception_fp_ieee_invalid_op 0
		.amdhsa_exception_fp_denorm_src 0
		.amdhsa_exception_fp_ieee_div_zero 0
		.amdhsa_exception_fp_ieee_overflow 0
		.amdhsa_exception_fp_ieee_underflow 0
		.amdhsa_exception_fp_ieee_inexact 0
		.amdhsa_exception_int_div_zero 0
	.end_amdhsa_kernel
	.section	.text._ZL15flash_attn_tileILi576ELi512ELi8ELi4ELb1EEvPKcS1_S1_S1_S1_PKiPfP15HIP_vector_typeIfLj2EEffffjfiS5_IjLj3EEiiiiiiiiiiiliiliiiiil,"axG",@progbits,_ZL15flash_attn_tileILi576ELi512ELi8ELi4ELb1EEvPKcS1_S1_S1_S1_PKiPfP15HIP_vector_typeIfLj2EEffffjfiS5_IjLj3EEiiiiiiiiiiiliiliiiiil,comdat
.Lfunc_end25:
	.size	_ZL15flash_attn_tileILi576ELi512ELi8ELi4ELb1EEvPKcS1_S1_S1_S1_PKiPfP15HIP_vector_typeIfLj2EEffffjfiS5_IjLj3EEiiiiiiiiiiiliiliiiiil, .Lfunc_end25-_ZL15flash_attn_tileILi576ELi512ELi8ELi4ELb1EEvPKcS1_S1_S1_S1_PKiPfP15HIP_vector_typeIfLj2EEffffjfiS5_IjLj3EEiiiiiiiiiiiliiliiiiil
                                        ; -- End function
	.set _ZL15flash_attn_tileILi576ELi512ELi8ELi4ELb1EEvPKcS1_S1_S1_S1_PKiPfP15HIP_vector_typeIfLj2EEffffjfiS5_IjLj3EEiiiiiiiiiiiliiliiiiil.num_vgpr, 109
	.set _ZL15flash_attn_tileILi576ELi512ELi8ELi4ELb1EEvPKcS1_S1_S1_S1_PKiPfP15HIP_vector_typeIfLj2EEffffjfiS5_IjLj3EEiiiiiiiiiiiliiliiiiil.num_agpr, 0
	.set _ZL15flash_attn_tileILi576ELi512ELi8ELi4ELb1EEvPKcS1_S1_S1_S1_PKiPfP15HIP_vector_typeIfLj2EEffffjfiS5_IjLj3EEiiiiiiiiiiiliiliiiiil.numbered_sgpr, 44
	.set _ZL15flash_attn_tileILi576ELi512ELi8ELi4ELb1EEvPKcS1_S1_S1_S1_PKiPfP15HIP_vector_typeIfLj2EEffffjfiS5_IjLj3EEiiiiiiiiiiiliiliiiiil.num_named_barrier, 0
	.set _ZL15flash_attn_tileILi576ELi512ELi8ELi4ELb1EEvPKcS1_S1_S1_S1_PKiPfP15HIP_vector_typeIfLj2EEffffjfiS5_IjLj3EEiiiiiiiiiiiliiliiiiil.private_seg_size, 0
	.set _ZL15flash_attn_tileILi576ELi512ELi8ELi4ELb1EEvPKcS1_S1_S1_S1_PKiPfP15HIP_vector_typeIfLj2EEffffjfiS5_IjLj3EEiiiiiiiiiiiliiliiiiil.uses_vcc, 1
	.set _ZL15flash_attn_tileILi576ELi512ELi8ELi4ELb1EEvPKcS1_S1_S1_S1_PKiPfP15HIP_vector_typeIfLj2EEffffjfiS5_IjLj3EEiiiiiiiiiiiliiliiiiil.uses_flat_scratch, 0
	.set _ZL15flash_attn_tileILi576ELi512ELi8ELi4ELb1EEvPKcS1_S1_S1_S1_PKiPfP15HIP_vector_typeIfLj2EEffffjfiS5_IjLj3EEiiiiiiiiiiiliiliiiiil.has_dyn_sized_stack, 0
	.set _ZL15flash_attn_tileILi576ELi512ELi8ELi4ELb1EEvPKcS1_S1_S1_S1_PKiPfP15HIP_vector_typeIfLj2EEffffjfiS5_IjLj3EEiiiiiiiiiiiliiliiiiil.has_recursion, 0
	.set _ZL15flash_attn_tileILi576ELi512ELi8ELi4ELb1EEvPKcS1_S1_S1_S1_PKiPfP15HIP_vector_typeIfLj2EEffffjfiS5_IjLj3EEiiiiiiiiiiiliiliiiiil.has_indirect_call, 0
	.section	.AMDGPU.csdata,"",@progbits
; Kernel info:
; codeLenInByte = 52772
; TotalNumSgprs: 48
; NumVgprs: 109
; ScratchSize: 0
; MemoryBound: 0
; FloatMode: 240
; IeeeMode: 1
; LDSByteSize: 63488 bytes/workgroup (compile time only)
; SGPRBlocks: 12
; VGPRBlocks: 27
; NumSGPRsForWavesPerEU: 102
; NumVGPRsForWavesPerEU: 109
; Occupancy: 2
; WaveLimiterHint : 1
; COMPUTE_PGM_RSRC2:SCRATCH_EN: 0
; COMPUTE_PGM_RSRC2:USER_SGPR: 6
; COMPUTE_PGM_RSRC2:TRAP_HANDLER: 0
; COMPUTE_PGM_RSRC2:TGID_X_EN: 1
; COMPUTE_PGM_RSRC2:TGID_Y_EN: 1
; COMPUTE_PGM_RSRC2:TGID_Z_EN: 1
; COMPUTE_PGM_RSRC2:TIDIG_COMP_CNT: 1
	.section	.text._ZL15flash_attn_tileILi576ELi512ELi4ELi4ELb1EEvPKcS1_S1_S1_S1_PKiPfP15HIP_vector_typeIfLj2EEffffjfiS5_IjLj3EEiiiiiiiiiiiliiliiiiil,"axG",@progbits,_ZL15flash_attn_tileILi576ELi512ELi4ELi4ELb1EEvPKcS1_S1_S1_S1_PKiPfP15HIP_vector_typeIfLj2EEffffjfiS5_IjLj3EEiiiiiiiiiiiliiliiiiil,comdat
	.globl	_ZL15flash_attn_tileILi576ELi512ELi4ELi4ELb1EEvPKcS1_S1_S1_S1_PKiPfP15HIP_vector_typeIfLj2EEffffjfiS5_IjLj3EEiiiiiiiiiiiliiliiiiil ; -- Begin function _ZL15flash_attn_tileILi576ELi512ELi4ELi4ELb1EEvPKcS1_S1_S1_S1_PKiPfP15HIP_vector_typeIfLj2EEffffjfiS5_IjLj3EEiiiiiiiiiiiliiliiiiil
	.p2align	8
	.type	_ZL15flash_attn_tileILi576ELi512ELi4ELi4ELb1EEvPKcS1_S1_S1_S1_PKiPfP15HIP_vector_typeIfLj2EEffffjfiS5_IjLj3EEiiiiiiiiiiiliiliiiiil,@function
_ZL15flash_attn_tileILi576ELi512ELi4ELi4ELb1EEvPKcS1_S1_S1_S1_PKiPfP15HIP_vector_typeIfLj2EEffffjfiS5_IjLj3EEiiiiiiiiiiiliiliiiiil: ; @_ZL15flash_attn_tileILi576ELi512ELi4ELi4ELb1EEvPKcS1_S1_S1_S1_PKiPfP15HIP_vector_typeIfLj2EEffffjfiS5_IjLj3EEiiiiiiiiiiiliiliiiiil
; %bb.0:
	s_load_dwordx4 s[0:3], s[4:5], 0x5c
	s_load_dwordx2 s[28:29], s[4:5], 0x80
	s_load_dwordx2 s[34:35], s[4:5], 0xb8
	s_mov_b64 s[30:31], 0
	s_waitcnt lgkmcnt(0)
	s_ashr_i32 s9, s3, 31
	s_lshr_b32 s9, s9, 30
	s_add_i32 s9, s3, s9
	s_ashr_i32 s9, s9, 2
	v_cvt_f32_u32_e32 v2, s9
	s_sub_i32 s10, 0, s9
	v_rcp_iflag_f32_e32 v2, v2
	v_mul_f32_e32 v2, 0x4f7ffffe, v2
	v_cvt_u32_f32_e32 v2, v2
	v_readfirstlane_b32 s11, v2
	s_mul_i32 s10, s10, s11
	s_mul_hi_u32 s10, s11, s10
	s_add_i32 s11, s11, s10
	s_mul_hi_u32 s10, s8, s11
	s_mul_i32 s11, s10, s9
	s_sub_i32 s11, s8, s11
	s_add_i32 s12, s10, 1
	s_sub_i32 s13, s11, s9
	s_cmp_ge_u32 s11, s9
	s_cselect_b32 s10, s12, s10
	s_cselect_b32 s11, s13, s11
	s_add_i32 s12, s10, 1
	s_cmp_ge_u32 s11, s9
	s_cselect_b32 s33, s12, s10
	s_abs_i32 s9, s29
	v_cvt_f32_u32_e32 v2, s9
	s_lshl_b32 s8, s8, 2
	s_mul_i32 s12, s33, s3
	s_xor_b32 s10, s3, s29
	v_rcp_iflag_f32_e32 v2, v2
	s_sub_i32 s13, 0, s9
	s_sub_i32 s29, s8, s12
	s_abs_i32 s11, s3
	v_mul_f32_e32 v2, 0x4f7ffffe, v2
	v_cvt_u32_f32_e32 v2, v2
	s_ashr_i32 s10, s10, 31
	v_readfirstlane_b32 s8, v2
	s_mul_i32 s13, s13, s8
	s_mul_hi_u32 s12, s8, s13
	s_add_i32 s8, s8, s12
	s_mul_hi_u32 s8, s11, s8
	s_mul_i32 s12, s8, s9
	s_sub_i32 s11, s11, s12
	s_add_i32 s13, s8, 1
	s_sub_i32 s12, s11, s9
	s_cmp_ge_u32 s11, s9
	s_cselect_b32 s8, s13, s8
	s_cselect_b32 s11, s12, s11
	s_add_i32 s12, s8, 1
	s_cmp_ge_u32 s11, s9
	s_cselect_b32 s8, s12, s8
	s_xor_b32 s8, s8, s10
	s_sub_i32 s37, s8, s10
	s_abs_i32 s36, s37
	v_cvt_f32_u32_e32 v2, s36
	s_load_dwordx16 s[8:23], s[4:5], 0x0
	v_rcp_iflag_f32_e32 v2, v2
	s_waitcnt lgkmcnt(0)
	s_cmp_eq_u64 s[14:15], 0
	v_mul_f32_e32 v2, 0x4f7ffffe, v2
	v_cvt_u32_f32_e32 v2, v2
	v_readfirstlane_b32 s24, v2
	s_cbranch_scc1 .LBB26_2
; %bb.1:
	s_abs_i32 s25, s34
	v_cvt_f32_u32_e32 v2, s25
	s_sub_i32 s34, 0, s25
	s_abs_i32 s31, s33
	s_ashr_i32 s30, s33, 31
	v_rcp_iflag_f32_e32 v2, v2
	s_load_dwordx2 s[26:27], s[4:5], 0xc8
	v_mul_f32_e32 v2, 0x4f7ffffe, v2
	v_cvt_u32_f32_e32 v2, v2
	v_readfirstlane_b32 s38, v2
	s_mul_i32 s34, s34, s38
	s_mul_hi_u32 s34, s38, s34
	s_add_i32 s38, s38, s34
	s_mul_hi_u32 s34, s31, s38
	s_mul_i32 s34, s34, s25
	s_sub_i32 s31, s31, s34
	s_sub_i32 s34, s31, s25
	s_cmp_ge_u32 s31, s25
	s_cselect_b32 s31, s34, s31
	s_sub_i32 s34, s31, s25
	s_cmp_ge_u32 s31, s25
	s_cselect_b32 s25, s34, s31
	s_xor_b32 s25, s25, s30
	s_sub_i32 s25, s25, s30
	s_ashr_i32 s30, s25, 31
	s_waitcnt lgkmcnt(0)
	s_mul_hi_u32 s31, s26, s25
	s_mul_i32 s30, s26, s30
	s_mul_i32 s27, s27, s25
	s_add_i32 s30, s31, s30
	s_add_i32 s27, s30, s27
	s_mul_i32 s25, s26, s25
	s_add_u32 s30, s14, s25
	s_addc_u32 s31, s15, s27
.LBB26_2:
	v_lshrrev_b32_e32 v2, 1, v1
	s_load_dwordx4 s[40:43], s[4:5], 0x70
	v_lshl_add_u32 v12, s6, 2, v2
	v_mul_hi_u32 v2, s0, v12
	v_lshlrev_b32_e32 v5, 1, v1
	v_and_b32_e32 v13, 2, v5
	s_waitcnt lgkmcnt(0)
	s_mul_i32 s0, s33, s42
	v_add_u32_e32 v2, v12, v2
	s_ashr_i32 s15, s0, 31
	v_lshrrev_b32_e32 v2, s1, v2
	s_mul_i32 s14, s29, s41
	s_add_u32 s0, s8, s0
	v_mul_lo_u32 v2, v2, s2
	s_addc_u32 s8, s9, s15
	s_ashr_i32 s9, s14, 31
	s_add_u32 s14, s0, s14
	s_addc_u32 s15, s8, s9
	s_ashr_i32 s9, s41, 31
	s_mov_b32 s8, s41
	s_ashr_i32 s41, s40, 31
	v_sub_u32_e32 v4, v12, v2
	s_lshr_b64 s[0:1], s[40:41], 2
	v_mad_u64_u32 v[2:3], s[0:1], s0, v4, 0
	s_lshr_b32 s0, s41, 2
	v_mul_u32_u24_e32 v15, 0x900, v1
	v_mad_u64_u32 v[6:7], s[0:1], s0, v4, v[3:4]
	s_lshr_b64 s[0:1], s[8:9], 2
	s_lshr_b32 s8, s9, 2
	v_mov_b32_e32 v3, v6
	v_lshlrev_b64 v[2:3], 2, v[2:3]
	v_mov_b32_e32 v6, s15
	v_add_co_u32_e32 v7, vcc, s14, v2
	v_addc_co_u32_e32 v8, vcc, v6, v3, vcc
	v_mul_lo_u32 v9, s8, v13
	v_mad_u64_u32 v[2:3], s[8:9], s0, v13, 0
	v_lshlrev_b32_e32 v6, 4, v0
	v_add_co_u32_e32 v6, vcc, v7, v6
	v_or_b32_e32 v3, v3, v9
	v_lshlrev_b64 v[2:3], 2, v[2:3]
	v_addc_co_u32_e32 v8, vcc, 0, v8, vcc
	v_add_co_u32_e32 v2, vcc, v6, v2
	v_addc_co_u32_e32 v3, vcc, v8, v3, vcc
	global_load_dwordx4 v[16:19], v[2:3], off
	global_load_dwordx4 v[20:23], v[2:3], off offset:512
	global_load_dwordx4 v[24:27], v[2:3], off offset:1024
	;; [unrolled: 1-line block ×3, first 2 shown]
	s_load_dword s14, s[4:5], 0x40
	v_lshlrev_b32_e32 v7, 3, v0
	s_movk_i32 s8, 0x900
	v_mad_u32_u24 v11, v1, s8, v7
	v_cmp_gt_u32_e32 vcc, 16, v0
	s_waitcnt vmcnt(3) lgkmcnt(0)
	v_fma_mixlo_f16 v9, s14, v16, 0
	v_fma_mixlo_f16 v10, s14, v17, 0
	;; [unrolled: 1-line block ×4, first 2 shown]
	s_waitcnt vmcnt(2)
	v_fma_mixlo_f16 v17, s14, v20, 0
	v_fma_mixlo_f16 v18, s14, v21, 0
	;; [unrolled: 1-line block ×4, first 2 shown]
	s_waitcnt vmcnt(1)
	v_fma_mixlo_f16 v21, s14, v24, 0
	v_fma_mixlo_f16 v22, s14, v25, 0
	;; [unrolled: 1-line block ×3, first 2 shown]
	s_waitcnt vmcnt(0)
	v_fma_mixlo_f16 v25, s14, v28, 0
	v_fma_mixlo_f16 v26, s14, v29, 0
	v_lshlrev_b32_e32 v10, 16, v10
	v_and_b32_e32 v9, 0xffff, v9
	v_lshlrev_b32_e32 v16, 16, v16
	v_and_b32_e32 v14, 0xffff, v14
	;; [unrolled: 2-line block ×3, first 2 shown]
	v_fma_mixlo_f16 v24, s14, v27, 0
	v_fma_mixlo_f16 v27, s14, v30, 0
	;; [unrolled: 1-line block ×3, first 2 shown]
	v_lshlrev_b32_e32 v20, 16, v20
	v_and_b32_e32 v19, 0xffff, v19
	v_lshlrev_b32_e32 v22, 16, v22
	v_and_b32_e32 v21, 0xffff, v21
	;; [unrolled: 2-line block ×3, first 2 shown]
	v_or_b32_e32 v9, v10, v9
	v_or3_b32 v10, v16, v14, 0
	v_or_b32_e32 v14, v18, v17
	v_lshlrev_b32_e32 v24, 16, v24
	v_and_b32_e32 v23, 0xffff, v23
	v_lshlrev_b32_e32 v28, 16, v28
	v_and_b32_e32 v27, 0xffff, v27
	v_or3_b32 v17, v20, v19, 0
	v_or_b32_e32 v18, v22, v21
	v_or_b32_e32 v20, v26, v25
	v_or3_b32 v9, 0, 0, v9
	v_or3_b32 v16, 0, 0, v14
	;; [unrolled: 1-line block ×6, first 2 shown]
	ds_write2_b64 v11, v[9:10], v[16:17] offset1:32
	ds_write2_b64 v11, v[18:19], v[20:21] offset0:64 offset1:96
	s_and_saveexec_b64 s[8:9], vcc
	s_cbranch_execz .LBB26_4
; %bb.3:
	global_load_dwordx4 v[16:19], v[2:3], off offset:2048
	s_waitcnt vmcnt(0)
	v_fma_mixlo_f16 v2, s14, v16, 0
	v_fma_mixlo_f16 v3, s14, v17, 0
	;; [unrolled: 1-line block ×4, first 2 shown]
	v_lshlrev_b32_e32 v3, 16, v3
	v_and_b32_e32 v2, 0xffff, v2
	v_lshlrev_b32_e32 v10, 16, v10
	v_and_b32_e32 v9, 0xffff, v9
	v_or_b32_e32 v2, v3, v2
	v_or3_b32 v3, v10, v9, 0
	v_or3_b32 v2, 0, 0, v2
	v_add_u32_e32 v9, v7, v15
	ds_write_b64 v9, v[2:3] offset:1024
.LBB26_4:
	s_or_b64 exec, exec, s[8:9]
	v_or_b32_e32 v5, 1, v5
	v_and_b32_e32 v9, 3, v5
	v_mad_u64_u32 v[2:3], s[8:9], s0, v9, 0
	v_mad_u64_u32 v[9:10], s[0:1], s1, v9, v[3:4]
	v_mov_b32_e32 v3, v9
	v_lshlrev_b64 v[2:3], 2, v[2:3]
	v_add_co_u32_e64 v2, s[0:1], v6, v2
	v_addc_co_u32_e64 v3, s[0:1], v8, v3, s[0:1]
	global_load_dwordx4 v[8:11], v[2:3], off
	global_load_dwordx4 v[16:19], v[2:3], off offset:512
	global_load_dwordx4 v[20:23], v[2:3], off offset:1024
	;; [unrolled: 1-line block ×3, first 2 shown]
	s_movk_i32 s0, 0x480
	v_mad_u32_u24 v6, v5, s0, v7
	s_waitcnt vmcnt(3)
	v_fma_mixlo_f16 v8, s14, v8, 0
	v_fma_mixlo_f16 v9, s14, v9, 0
	v_fma_mixlo_f16 v10, s14, v10, 0
	v_fma_mixlo_f16 v11, s14, v11, 0
	s_waitcnt vmcnt(2)
	v_fma_mixlo_f16 v14, s14, v16, 0
	v_fma_mixlo_f16 v16, s14, v17, 0
	v_fma_mixlo_f16 v17, s14, v18, 0
	v_fma_mixlo_f16 v18, s14, v19, 0
	;; [unrolled: 5-line block ×3, first 2 shown]
	s_waitcnt vmcnt(0)
	v_fma_mixlo_f16 v23, s14, v24, 0
	v_fma_mixlo_f16 v24, s14, v25, 0
	v_lshlrev_b32_e32 v9, 16, v9
	v_and_b32_e32 v8, 0xffff, v8
	v_lshlrev_b32_e32 v11, 16, v11
	v_and_b32_e32 v10, 0xffff, v10
	;; [unrolled: 2-line block ×3, first 2 shown]
	v_fma_mixlo_f16 v25, s14, v26, 0
	v_fma_mixlo_f16 v26, s14, v27, 0
	v_lshlrev_b32_e32 v18, 16, v18
	v_and_b32_e32 v17, 0xffff, v17
	v_lshlrev_b32_e32 v20, 16, v20
	v_and_b32_e32 v19, 0xffff, v19
	;; [unrolled: 2-line block ×3, first 2 shown]
	v_or_b32_e32 v8, v9, v8
	v_or3_b32 v9, v11, v10, 0
	v_or_b32_e32 v10, v16, v14
	v_lshlrev_b32_e32 v22, 16, v22
	v_and_b32_e32 v21, 0xffff, v21
	v_lshlrev_b32_e32 v26, 16, v26
	v_and_b32_e32 v25, 0xffff, v25
	v_or3_b32 v11, v18, v17, 0
	v_or_b32_e32 v14, v20, v19
	v_or_b32_e32 v18, v24, v23
	v_or3_b32 v8, 0, 0, v8
	v_or3_b32 v10, 0, 0, v10
	;; [unrolled: 1-line block ×6, first 2 shown]
	ds_write2_b64 v6, v[8:9], v[10:11] offset1:32
	ds_write2_b64 v6, v[16:17], v[18:19] offset0:64 offset1:96
	s_and_saveexec_b64 s[0:1], vcc
	s_cbranch_execz .LBB26_6
; %bb.5:
	global_load_dwordx4 v[8:11], v[2:3], off offset:2048
	v_mul_u32_u24_e32 v5, 0x480, v5
	v_add_u32_e32 v5, v7, v5
	s_waitcnt vmcnt(0)
	v_fma_mixlo_f16 v2, s14, v8, 0
	v_fma_mixlo_f16 v3, s14, v9, 0
	;; [unrolled: 1-line block ×4, first 2 shown]
	v_lshlrev_b32_e32 v3, 16, v3
	v_and_b32_e32 v2, 0xffff, v2
	v_lshlrev_b32_e32 v8, 16, v8
	v_and_b32_e32 v6, 0xffff, v6
	v_or_b32_e32 v2, v3, v2
	v_or3_b32 v3, v8, v6, 0
	v_or3_b32 v2, 0, 0, v2
	ds_write_b64 v5, v[2:3] offset:1024
.LBB26_6:
	s_or_b64 exec, exec, s[0:1]
	s_cmp_eq_u64 s[18:19], 0
	s_waitcnt lgkmcnt(0)
	s_barrier
	s_cbranch_scc1 .LBB26_8
; %bb.7:
	s_load_dword s0, s[4:5], 0xd0
	s_mov_b32 s1, 0
	s_waitcnt lgkmcnt(0)
	s_mul_i32 s0, s0, s33
	s_add_i32 s0, s0, s6
	s_lshl_b64 s[0:1], s[0:1], 2
	s_add_u32 s0, s18, s0
	s_addc_u32 s1, s19, s1
	s_load_dword s28, s[0:1], 0x0
.LBB26_8:
	s_lshl_b32 s6, s7, 6
	v_lshlrev_b32_e32 v14, 2, v0
	s_waitcnt lgkmcnt(0)
	s_cmp_lt_i32 s6, s28
	v_mbcnt_lo_u32_b32 v2, -1, 0
	s_cbranch_scc1 .LBB26_14
; %bb.9:
	v_mbcnt_hi_u32_b32 v16, -1, v2
	v_and_b32_e32 v3, 0x60, v16
	v_add_u32_e32 v51, 32, v3
	v_xor_b32_e32 v56, 16, v16
	v_xor_b32_e32 v52, 8, v16
	;; [unrolled: 1-line block ×5, first 2 shown]
	s_cbranch_execz .LBB26_15
; %bb.10:
	v_mov_b32_e32 v39, 0
	v_mov_b32_e32 v58, 0
	;; [unrolled: 1-line block ×20, first 2 shown]
.LBB26_11:
	v_cmp_lt_i32_e32 vcc, v56, v51
	v_cndmask_b32_e32 v1, v16, v56, vcc
	v_lshlrev_b32_e32 v1, 2, v1
	ds_bpermute_b32 v2, v1, v57
	ds_bpermute_b32 v1, v1, v58
	v_cmp_lt_i32_e32 vcc, v52, v51
	v_cndmask_b32_e32 v3, v16, v52, vcc
	v_lshlrev_b32_e32 v3, 2, v3
	s_waitcnt lgkmcnt(1)
	v_add_f32_e32 v2, v57, v2
	s_waitcnt lgkmcnt(0)
	v_add_f32_e32 v1, v58, v1
	ds_bpermute_b32 v4, v3, v2
	ds_bpermute_b32 v3, v3, v1
	v_cmp_lt_i32_e32 vcc, v53, v51
	v_cndmask_b32_e32 v5, v16, v53, vcc
	v_lshlrev_b32_e32 v5, 2, v5
	s_waitcnt lgkmcnt(1)
	v_add_f32_e32 v2, v2, v4
	s_waitcnt lgkmcnt(0)
	v_add_f32_e32 v1, v1, v3
	;; [unrolled: 9-line block ×4, first 2 shown]
	ds_bpermute_b32 v4, v5, v2
	ds_bpermute_b32 v5, v5, v3
	s_cmp_lg_u64 s[16:17], 0
	s_cselect_b64 s[0:1], -1, 0
	s_cmp_eq_u32 s7, 0
	s_cselect_b64 s[8:9], -1, 0
	s_and_b64 s[0:1], s[8:9], s[0:1]
	s_waitcnt lgkmcnt(1)
	v_add_f32_e32 v1, v2, v4
	s_waitcnt lgkmcnt(0)
	v_add_f32_e32 v2, v3, v5
	s_and_b64 vcc, exec, s[0:1]
	s_cbranch_vccz .LBB26_34
; %bb.12:
	v_add_u32_e32 v3, s29, v13
	v_ashrrev_i32_e32 v4, 31, v3
	v_lshlrev_b64 v[3:4], 2, v[3:4]
	v_mov_b32_e32 v5, s17
	v_add_co_u32_e32 v3, vcc, s16, v3
	v_addc_co_u32_e32 v4, vcc, v5, v4, vcc
	global_load_dwordx2 v[3:4], v[3:4], off
	v_max_f32_e32 v5, v10, v10
	v_max_f32_e32 v6, v11, v11
	s_mov_b32 s0, 0x3fb8aa3b
	s_mov_b32 s1, 0xc2ce8ed0
	;; [unrolled: 1-line block ×3, first 2 shown]
	v_mov_b32_e32 v7, 0x7f800000
	s_waitcnt vmcnt(0)
	v_max_f32_e32 v8, v3, v3
	v_max_f32_e32 v9, v4, v4
	;; [unrolled: 1-line block ×4, first 2 shown]
	v_sub_f32_e32 v8, v10, v5
	v_sub_f32_e32 v9, v11, v6
	v_mov_b32_e32 v11, v6
	v_sub_f32_e32 v3, v3, v5
	v_mov_b32_e32 v10, v5
	v_mul_f32_e32 v5, 0x3fb8aa3b, v8
	v_sub_f32_e32 v4, v4, v6
	v_mul_f32_e32 v6, 0x3fb8aa3b, v3
	v_fma_f32 v17, v8, s0, -v5
	v_rndne_f32_e32 v18, v5
	v_mul_f32_e32 v15, 0x3fb8aa3b, v9
	v_fma_f32 v19, v3, s0, -v6
	v_rndne_f32_e32 v20, v6
	v_fmac_f32_e32 v17, 0x32a5705f, v8
	v_sub_f32_e32 v5, v5, v18
	v_mul_f32_e32 v16, 0x3fb8aa3b, v4
	v_fma_f32 v21, v9, s0, -v15
	v_rndne_f32_e32 v22, v15
	v_fmac_f32_e32 v19, 0x32a5705f, v3
	v_sub_f32_e32 v6, v6, v20
	v_add_f32_e32 v5, v5, v17
	v_fma_f32 v23, v4, s0, -v16
	v_rndne_f32_e32 v24, v16
	v_cvt_i32_f32_e32 v18, v18
	v_fmac_f32_e32 v21, 0x32a5705f, v9
	v_sub_f32_e32 v15, v15, v22
	v_add_f32_e32 v6, v6, v19
	v_exp_f32_e32 v5, v5
	v_cvt_i32_f32_e32 v20, v20
	v_fmac_f32_e32 v23, 0x32a5705f, v4
	v_sub_f32_e32 v16, v16, v24
	v_add_f32_e32 v15, v15, v21
	v_exp_f32_e32 v6, v6
	v_cvt_i32_f32_e32 v22, v22
	v_add_f32_e32 v16, v16, v23
	v_exp_f32_e32 v15, v15
	v_cvt_i32_f32_e32 v24, v24
	v_exp_f32_e32 v16, v16
	v_ldexp_f32 v5, v5, v18
	v_cmp_ngt_f32_e32 vcc, s1, v8
	v_ldexp_f32 v6, v6, v20
	v_cndmask_b32_e32 v5, 0, v5, vcc
	v_cmp_ngt_f32_e32 vcc, s1, v3
	v_ldexp_f32 v15, v15, v22
	v_cndmask_b32_e32 v6, 0, v6, vcc
	v_cmp_ngt_f32_e32 vcc, s1, v9
	v_ldexp_f32 v16, v16, v24
	v_cndmask_b32_e32 v15, 0, v15, vcc
	v_cmp_ngt_f32_e32 vcc, s1, v4
	v_cndmask_b32_e32 v16, 0, v16, vcc
	v_cmp_nlt_f32_e32 vcc, s6, v8
	v_cndmask_b32_e32 v5, v7, v5, vcc
	v_cmp_nlt_f32_e32 vcc, s6, v3
	;; [unrolled: 2-line block ×4, first 2 shown]
	v_cndmask_b32_e32 v4, v7, v16, vcc
	v_fmac_f32_e32 v3, v1, v5
	v_cvt_f16_f32_e32 v5, v5
	v_cvt_f16_f32_e32 v7, v6
	v_fmac_f32_e32 v4, v2, v6
	v_mov_b32_e32 v1, v3
	v_mul_u32_u24_e32 v2, 0x10001, v5
	v_mul_u32_u24_e32 v5, 0x10001, v7
	v_pk_mul_f16 v39, v39, v2
	v_pk_mul_f16 v46, v46, v2
	;; [unrolled: 1-line block ×16, first 2 shown]
	v_mov_b32_e32 v2, v4
	v_cmp_gt_i32_e32 vcc, s2, v12
	s_and_saveexec_b64 s[0:1], vcc
	s_cbranch_execnz .LBB26_35
.LBB26_13:
	s_endpgm
.LBB26_14:
                                        ; implicit-def: $vgpr16
                                        ; implicit-def: $vgpr51
                                        ; implicit-def: $vgpr56
                                        ; implicit-def: $vgpr52
                                        ; implicit-def: $vgpr53
                                        ; implicit-def: $vgpr54
                                        ; implicit-def: $vgpr55
.LBB26_15:
	s_sub_i32 s0, 0, s36
	s_mul_i32 s0, s0, s24
	s_mul_hi_u32 s0, s24, s0
	s_abs_i32 s19, s29
	s_add_i32 s24, s24, s0
	s_mul_hi_u32 s34, s19, s24
	s_load_dwordx4 s[24:27], s[4:5], 0x98
	s_load_dword s14, s[4:5], 0x54
	s_load_dwordx2 s[0:1], s[4:5], 0x8c
	s_ashr_i32 s38, s29, 31
	s_ashr_i32 s37, s37, 31
	s_waitcnt lgkmcnt(0)
	s_ashr_i32 s15, s26, 2
	s_ashr_i32 s26, s35, 1
	;; [unrolled: 1-line block ×4, first 2 shown]
	s_mul_hi_u32 s35, s24, s33
	s_mul_i32 s39, s24, s0
	s_add_i32 s35, s35, s39
	s_mul_i32 s25, s25, s33
	s_add_i32 s35, s35, s25
	s_mul_i32 s24, s24, s33
	s_add_u32 s10, s10, s24
	s_mul_i32 s25, s34, s36
	s_addc_u32 s11, s11, s35
	s_sub_i32 s19, s19, s25
	s_xor_b32 s24, s38, s37
	s_add_i32 s25, s34, 1
	s_sub_i32 s35, s19, s36
	s_cmp_ge_u32 s19, s36
	s_cselect_b32 s25, s25, s34
	s_cselect_b32 s19, s35, s19
	s_add_i32 s34, s25, 1
	s_cmp_ge_u32 s19, s36
	s_load_dwordx2 s[8:9], s[4:5], 0xa8
	s_cselect_b32 s19, s34, s25
	s_xor_b32 s19, s19, s24
	s_sub_i32 s19, s19, s24
	s_mul_i32 s1, s19, s1
	s_ashr_i32 s24, s1, 31
	s_add_u32 s10, s10, s1
	s_waitcnt lgkmcnt(0)
	s_mul_hi_u32 s1, s8, s33
	s_mul_i32 s0, s8, s0
	s_addc_u32 s11, s11, s24
	s_add_i32 s0, s1, s0
	s_mul_i32 s1, s9, s33
	s_add_i32 s0, s0, s1
	s_mul_i32 s1, s8, s33
	s_add_u32 s1, s12, s1
	s_mul_i32 s19, s19, s27
	s_addc_u32 s0, s13, s0
	s_ashr_i32 s8, s19, 31
	s_add_u32 s9, s1, s19
	v_lshrrev_b32_e32 v3, 3, v0
	v_and_b32_e32 v16, 28, v14
	s_addc_u32 s8, s0, s8
	v_lshl_add_u32 v3, v1, 2, v3
	v_lshlrev_b32_e32 v5, 2, v16
	s_movk_i32 s0, 0x90
	v_mul_lo_u32 v8, s18, v3
	v_mad_u32_u24 v3, v3, s0, v5
	v_add_u32_e32 v17, 0x4800, v3
	v_add_u32_e32 v18, 0x5a00, v3
	v_mov_b32_e32 v3, 0x4800
	v_mad_u32_u24 v19, v0, s0, v3
	v_mov_b32_e32 v3, 0x6c00
	v_lshl_add_u32 v20, v1, 8, v3
	v_mul_lo_u32 v3, s15, v1
	v_mad_u64_u32 v[5:6], s[0:1], v4, s26, v[0:1]
	v_lshl_add_u32 v10, s18, 5, v8
	v_ashrrev_i32_e32 v4, 31, v3
	v_lshlrev_b64 v[3:4], 2, v[3:4]
	v_mov_b32_e32 v22, s8
	v_add_co_u32_e32 v3, vcc, s9, v3
	v_ashrrev_i32_e32 v9, 31, v8
	v_ashrrev_i32_e32 v11, 31, v10
	v_lshlrev_b32_e32 v6, 2, v14
	v_addc_co_u32_e32 v4, vcc, v22, v4, vcc
	v_lshl_add_u32 v1, v1, 10, v6
	v_or_b32_e32 v23, 0x4800, v7
	s_add_u32 s0, s4, 0xd0
	v_add_co_u32_e32 v24, vcc, v3, v6
	v_lshlrev_b64 v[6:7], 2, v[8:9]
	v_lshlrev_b64 v[8:9], 2, v[10:11]
	v_mov_b32_e32 v31, 0
	v_add_u32_e32 v21, 0x4800, v1
	v_add_u32_e32 v22, 0x4a00, v1
	s_addc_u32 s1, s5, 0
	v_addc_co_u32_e32 v25, vcc, 0, v4, vcc
	v_mov_b32_e32 v50, 0xfeffffff
	v_lshlrev_b32_e32 v26, 2, v16
	s_mov_b32 s12, 0x3f200000
	s_mov_b32 s13, 0x3fb8aa3b
	;; [unrolled: 1-line block ×4, first 2 shown]
	v_mov_b32_e32 v27, 0xbd5c1c4e
	v_mov_b32_e32 v28, 0x3e088382
	;; [unrolled: 1-line block ×3, first 2 shown]
	s_brev_b32 s25, -2
	s_mov_b32 s26, 0x10001
	v_mov_b32_e32 v30, 0x7f800000
	v_mbcnt_hi_u32_b32 v16, -1, v2
	v_mov_b32_e32 v32, 0
	v_mov_b32_e32 v34, 0
	;; [unrolled: 1-line block ×18, first 2 shown]
.LBB26_16:                              ; =>This Inner Loop Header: Depth=1
	s_mul_hi_i32 s9, s6, s18
	s_mul_i32 s8, s6, s18
	s_lshl_b64 s[8:9], s[8:9], 2
	s_add_u32 s8, s10, s8
	s_addc_u32 s9, s11, s9
	v_mov_b32_e32 v1, s9
	v_add_co_u32_e32 v2, vcc, s8, v6
	v_addc_co_u32_e32 v3, vcc, v1, v7, vcc
	v_add_co_u32_e32 v1, vcc, v2, v26
	v_addc_co_u32_e32 v2, vcc, 0, v3, vcc
	v_mov_b32_e32 v3, s9
	v_add_co_u32_e32 v4, vcc, s8, v8
	v_addc_co_u32_e32 v10, vcc, v3, v9, vcc
	v_add_co_u32_e32 v3, vcc, v4, v26
	v_addc_co_u32_e32 v4, vcc, 0, v10, vcc
	global_load_dwordx4 v[52:55], v[1:2], off
	global_load_dwordx4 v[56:59], v[3:4], off
	v_mov_b32_e32 v51, 0
	v_mov_b32_e32 v10, 0
	;; [unrolled: 1-line block ×3, first 2 shown]
	s_waitcnt vmcnt(1)
	ds_write_b128 v17, v[52:55]
	s_waitcnt vmcnt(0)
	ds_write_b128 v18, v[56:59]
	s_waitcnt lgkmcnt(0)
	s_barrier
	ds_read_b128 v[53:56], v19
	ds_read_b128 v[57:60], v15
	ds_read_b128 v[61:64], v19 offset:4608
	ds_read_b128 v[65:68], v15 offset:1152
	s_waitcnt lgkmcnt(2)
	;;#ASMSTART
	v_dot2_f32_f16 v51, v53, v57, v51
	;;#ASMEND
	;;#ASMSTART
	v_dot2_f32_f16 v51, v54, v58, v51
	;;#ASMEND
	;; [unrolled: 3-line block ×4, first 2 shown]
	s_waitcnt lgkmcnt(0)
	;;#ASMSTART
	v_dot2_f32_f16 v10, v53, v65, v10
	;;#ASMEND
	;;#ASMSTART
	v_dot2_f32_f16 v10, v54, v66, v10
	;;#ASMEND
	v_mov_b32_e32 v52, 0
	;;#ASMSTART
	v_dot2_f32_f16 v10, v55, v67, v10
	;;#ASMEND
	;;#ASMSTART
	v_dot2_f32_f16 v10, v56, v68, v10
	;;#ASMEND
	;;#ASMSTART
	v_dot2_f32_f16 v52, v61, v57, v52
	;;#ASMEND
	;;#ASMSTART
	v_dot2_f32_f16 v52, v62, v58, v52
	;;#ASMEND
	;;#ASMSTART
	v_dot2_f32_f16 v52, v63, v59, v52
	;;#ASMEND
	;;#ASMSTART
	v_dot2_f32_f16 v52, v64, v60, v52
	;;#ASMEND
	;;#ASMSTART
	v_dot2_f32_f16 v11, v61, v65, v11
	;;#ASMEND
	;;#ASMSTART
	v_dot2_f32_f16 v11, v62, v66, v11
	;;#ASMEND
	;;#ASMSTART
	v_dot2_f32_f16 v11, v63, v67, v11
	;;#ASMEND
	;;#ASMSTART
	v_dot2_f32_f16 v11, v64, v68, v11
	;;#ASMEND
	ds_read_b128 v[53:56], v15 offset:16
	ds_read_b128 v[57:60], v19 offset:16
	ds_read_b128 v[61:64], v19 offset:4624
	ds_read_b128 v[65:68], v15 offset:1168
	s_waitcnt lgkmcnt(2)
	;;#ASMSTART
	v_dot2_f32_f16 v51, v57, v53, v51
	;;#ASMEND
	;;#ASMSTART
	v_dot2_f32_f16 v51, v58, v54, v51
	;;#ASMEND
	;;#ASMSTART
	v_dot2_f32_f16 v51, v59, v55, v51
	;;#ASMEND
	;;#ASMSTART
	v_dot2_f32_f16 v51, v60, v56, v51
	;;#ASMEND
	s_waitcnt lgkmcnt(0)
	;;#ASMSTART
	v_dot2_f32_f16 v10, v57, v65, v10
	;;#ASMEND
	;;#ASMSTART
	v_dot2_f32_f16 v10, v58, v66, v10
	;;#ASMEND
	;;#ASMSTART
	v_dot2_f32_f16 v10, v59, v67, v10
	;;#ASMEND
	;;#ASMSTART
	v_dot2_f32_f16 v10, v60, v68, v10
	;;#ASMEND
	;;#ASMSTART
	v_dot2_f32_f16 v52, v61, v53, v52
	;;#ASMEND
	;;#ASMSTART
	v_dot2_f32_f16 v52, v62, v54, v52
	;;#ASMEND
	;;#ASMSTART
	v_dot2_f32_f16 v52, v63, v55, v52
	;;#ASMEND
	;;#ASMSTART
	v_dot2_f32_f16 v52, v64, v56, v52
	;;#ASMEND
	;;#ASMSTART
	v_dot2_f32_f16 v11, v61, v65, v11
	;;#ASMEND
	;;#ASMSTART
	v_dot2_f32_f16 v11, v62, v66, v11
	;;#ASMEND
	;;#ASMSTART
	v_dot2_f32_f16 v11, v63, v67, v11
	;;#ASMEND
	;;#ASMSTART
	v_dot2_f32_f16 v11, v64, v68, v11
	;;#ASMEND
	ds_read_b128 v[53:56], v15 offset:32
	ds_read_b128 v[57:60], v19 offset:32
	ds_read_b128 v[61:64], v19 offset:4640
	ds_read_b128 v[65:68], v15 offset:1184
	s_waitcnt lgkmcnt(2)
	;;#ASMSTART
	v_dot2_f32_f16 v51, v57, v53, v51
	;;#ASMEND
	;;#ASMSTART
	v_dot2_f32_f16 v51, v58, v54, v51
	;;#ASMEND
	;;#ASMSTART
	v_dot2_f32_f16 v51, v59, v55, v51
	;;#ASMEND
	;;#ASMSTART
	v_dot2_f32_f16 v51, v60, v56, v51
	;;#ASMEND
	s_waitcnt lgkmcnt(0)
	;;#ASMSTART
	v_dot2_f32_f16 v10, v57, v65, v10
	;;#ASMEND
	;;#ASMSTART
	v_dot2_f32_f16 v10, v58, v66, v10
	;;#ASMEND
	;; [unrolled: 54-line block ×7, first 2 shown]
	;;#ASMSTART
	v_dot2_f32_f16 v10, v59, v67, v10
	;;#ASMEND
	;;#ASMSTART
	v_dot2_f32_f16 v10, v60, v68, v10
	;;#ASMEND
	;; [unrolled: 3-line block ×10, first 2 shown]
	s_barrier
	global_load_dwordx4 v[53:56], v[1:2], off offset:128
	global_load_dwordx4 v[57:60], v[3:4], off offset:128
	s_waitcnt vmcnt(1)
	ds_write_b128 v17, v[53:56]
	s_waitcnt vmcnt(0)
	ds_write_b128 v18, v[57:60]
	s_waitcnt lgkmcnt(0)
	s_barrier
	ds_read_b128 v[53:56], v15 offset:128
	ds_read_b128 v[57:60], v19
	ds_read_b128 v[61:64], v19 offset:4608
	ds_read_b128 v[65:68], v15 offset:1280
	s_waitcnt lgkmcnt(2)
	;;#ASMSTART
	v_dot2_f32_f16 v51, v57, v53, v51
	;;#ASMEND
	;;#ASMSTART
	v_dot2_f32_f16 v51, v58, v54, v51
	;;#ASMEND
	;;#ASMSTART
	v_dot2_f32_f16 v51, v59, v55, v51
	;;#ASMEND
	;;#ASMSTART
	v_dot2_f32_f16 v51, v60, v56, v51
	;;#ASMEND
	s_waitcnt lgkmcnt(0)
	;;#ASMSTART
	v_dot2_f32_f16 v10, v57, v65, v10
	;;#ASMEND
	;;#ASMSTART
	v_dot2_f32_f16 v10, v58, v66, v10
	;;#ASMEND
	;;#ASMSTART
	v_dot2_f32_f16 v10, v59, v67, v10
	;;#ASMEND
	;;#ASMSTART
	v_dot2_f32_f16 v10, v60, v68, v10
	;;#ASMEND
	;;#ASMSTART
	v_dot2_f32_f16 v52, v61, v53, v52
	;;#ASMEND
	;;#ASMSTART
	v_dot2_f32_f16 v52, v62, v54, v52
	;;#ASMEND
	;;#ASMSTART
	v_dot2_f32_f16 v52, v63, v55, v52
	;;#ASMEND
	;;#ASMSTART
	v_dot2_f32_f16 v52, v64, v56, v52
	;;#ASMEND
	;;#ASMSTART
	v_dot2_f32_f16 v11, v61, v65, v11
	;;#ASMEND
	;;#ASMSTART
	v_dot2_f32_f16 v11, v62, v66, v11
	;;#ASMEND
	;;#ASMSTART
	v_dot2_f32_f16 v11, v63, v67, v11
	;;#ASMEND
	;;#ASMSTART
	v_dot2_f32_f16 v11, v64, v68, v11
	;;#ASMEND
	ds_read_b128 v[53:56], v15 offset:144
	ds_read_b128 v[57:60], v19 offset:16
	ds_read_b128 v[61:64], v19 offset:4624
	ds_read_b128 v[65:68], v15 offset:1296
	s_waitcnt lgkmcnt(2)
	;;#ASMSTART
	v_dot2_f32_f16 v51, v57, v53, v51
	;;#ASMEND
	;;#ASMSTART
	v_dot2_f32_f16 v51, v58, v54, v51
	;;#ASMEND
	;;#ASMSTART
	v_dot2_f32_f16 v51, v59, v55, v51
	;;#ASMEND
	;;#ASMSTART
	v_dot2_f32_f16 v51, v60, v56, v51
	;;#ASMEND
	s_waitcnt lgkmcnt(0)
	;;#ASMSTART
	v_dot2_f32_f16 v10, v57, v65, v10
	;;#ASMEND
	;;#ASMSTART
	v_dot2_f32_f16 v10, v58, v66, v10
	;;#ASMEND
	;;#ASMSTART
	v_dot2_f32_f16 v10, v59, v67, v10
	;;#ASMEND
	;;#ASMSTART
	v_dot2_f32_f16 v10, v60, v68, v10
	;;#ASMEND
	;;#ASMSTART
	v_dot2_f32_f16 v52, v61, v53, v52
	;;#ASMEND
	;;#ASMSTART
	v_dot2_f32_f16 v52, v62, v54, v52
	;;#ASMEND
	;;#ASMSTART
	v_dot2_f32_f16 v52, v63, v55, v52
	;;#ASMEND
	;;#ASMSTART
	v_dot2_f32_f16 v52, v64, v56, v52
	;;#ASMEND
	;;#ASMSTART
	v_dot2_f32_f16 v11, v61, v65, v11
	;;#ASMEND
	;;#ASMSTART
	v_dot2_f32_f16 v11, v62, v66, v11
	;;#ASMEND
	;;#ASMSTART
	v_dot2_f32_f16 v11, v63, v67, v11
	;;#ASMEND
	;;#ASMSTART
	v_dot2_f32_f16 v11, v64, v68, v11
	;;#ASMEND
	ds_read_b128 v[53:56], v15 offset:160
	ds_read_b128 v[57:60], v19 offset:32
	;; [unrolled: 54-line block ×7, first 2 shown]
	ds_read_b128 v[61:64], v19 offset:4720
	ds_read_b128 v[65:68], v15 offset:1392
	s_waitcnt lgkmcnt(2)
	;;#ASMSTART
	v_dot2_f32_f16 v51, v57, v53, v51
	;;#ASMEND
	;;#ASMSTART
	v_dot2_f32_f16 v51, v58, v54, v51
	;;#ASMEND
	;; [unrolled: 3-line block ×4, first 2 shown]
	s_waitcnt lgkmcnt(0)
	;;#ASMSTART
	v_dot2_f32_f16 v10, v57, v65, v10
	;;#ASMEND
	;;#ASMSTART
	v_dot2_f32_f16 v10, v58, v66, v10
	;;#ASMEND
	;; [unrolled: 3-line block ×12, first 2 shown]
	s_barrier
	global_load_dwordx4 v[53:56], v[1:2], off offset:256
	global_load_dwordx4 v[57:60], v[3:4], off offset:256
	s_waitcnt vmcnt(1)
	ds_write_b128 v17, v[53:56]
	s_waitcnt vmcnt(0)
	ds_write_b128 v18, v[57:60]
	s_waitcnt lgkmcnt(0)
	s_barrier
	ds_read_b128 v[53:56], v15 offset:256
	ds_read_b128 v[57:60], v19
	ds_read_b128 v[61:64], v19 offset:4608
	ds_read_b128 v[65:68], v15 offset:1408
	s_waitcnt lgkmcnt(2)
	;;#ASMSTART
	v_dot2_f32_f16 v51, v57, v53, v51
	;;#ASMEND
	;;#ASMSTART
	v_dot2_f32_f16 v51, v58, v54, v51
	;;#ASMEND
	;;#ASMSTART
	v_dot2_f32_f16 v51, v59, v55, v51
	;;#ASMEND
	;;#ASMSTART
	v_dot2_f32_f16 v51, v60, v56, v51
	;;#ASMEND
	s_waitcnt lgkmcnt(0)
	;;#ASMSTART
	v_dot2_f32_f16 v10, v57, v65, v10
	;;#ASMEND
	;;#ASMSTART
	v_dot2_f32_f16 v10, v58, v66, v10
	;;#ASMEND
	;;#ASMSTART
	v_dot2_f32_f16 v10, v59, v67, v10
	;;#ASMEND
	;;#ASMSTART
	v_dot2_f32_f16 v10, v60, v68, v10
	;;#ASMEND
	;;#ASMSTART
	v_dot2_f32_f16 v52, v61, v53, v52
	;;#ASMEND
	;;#ASMSTART
	v_dot2_f32_f16 v52, v62, v54, v52
	;;#ASMEND
	;;#ASMSTART
	v_dot2_f32_f16 v52, v63, v55, v52
	;;#ASMEND
	;;#ASMSTART
	v_dot2_f32_f16 v52, v64, v56, v52
	;;#ASMEND
	;;#ASMSTART
	v_dot2_f32_f16 v11, v61, v65, v11
	;;#ASMEND
	;;#ASMSTART
	v_dot2_f32_f16 v11, v62, v66, v11
	;;#ASMEND
	;;#ASMSTART
	v_dot2_f32_f16 v11, v63, v67, v11
	;;#ASMEND
	;;#ASMSTART
	v_dot2_f32_f16 v11, v64, v68, v11
	;;#ASMEND
	ds_read_b128 v[53:56], v15 offset:272
	ds_read_b128 v[57:60], v19 offset:16
	ds_read_b128 v[61:64], v19 offset:4624
	ds_read_b128 v[65:68], v15 offset:1424
	s_waitcnt lgkmcnt(2)
	;;#ASMSTART
	v_dot2_f32_f16 v51, v57, v53, v51
	;;#ASMEND
	;;#ASMSTART
	v_dot2_f32_f16 v51, v58, v54, v51
	;;#ASMEND
	;;#ASMSTART
	v_dot2_f32_f16 v51, v59, v55, v51
	;;#ASMEND
	;;#ASMSTART
	v_dot2_f32_f16 v51, v60, v56, v51
	;;#ASMEND
	s_waitcnt lgkmcnt(0)
	;;#ASMSTART
	v_dot2_f32_f16 v10, v57, v65, v10
	;;#ASMEND
	;;#ASMSTART
	v_dot2_f32_f16 v10, v58, v66, v10
	;;#ASMEND
	;;#ASMSTART
	v_dot2_f32_f16 v10, v59, v67, v10
	;;#ASMEND
	;;#ASMSTART
	v_dot2_f32_f16 v10, v60, v68, v10
	;;#ASMEND
	;;#ASMSTART
	v_dot2_f32_f16 v52, v61, v53, v52
	;;#ASMEND
	;;#ASMSTART
	v_dot2_f32_f16 v52, v62, v54, v52
	;;#ASMEND
	;;#ASMSTART
	v_dot2_f32_f16 v52, v63, v55, v52
	;;#ASMEND
	;;#ASMSTART
	v_dot2_f32_f16 v52, v64, v56, v52
	;;#ASMEND
	;;#ASMSTART
	v_dot2_f32_f16 v11, v61, v65, v11
	;;#ASMEND
	;;#ASMSTART
	v_dot2_f32_f16 v11, v62, v66, v11
	;;#ASMEND
	;;#ASMSTART
	v_dot2_f32_f16 v11, v63, v67, v11
	;;#ASMEND
	;;#ASMSTART
	v_dot2_f32_f16 v11, v64, v68, v11
	;;#ASMEND
	ds_read_b128 v[53:56], v15 offset:288
	ds_read_b128 v[57:60], v19 offset:32
	;; [unrolled: 54-line block ×7, first 2 shown]
	ds_read_b128 v[61:64], v19 offset:4720
	ds_read_b128 v[65:68], v15 offset:1520
	s_waitcnt lgkmcnt(2)
	;;#ASMSTART
	v_dot2_f32_f16 v51, v57, v53, v51
	;;#ASMEND
	;;#ASMSTART
	v_dot2_f32_f16 v51, v58, v54, v51
	;;#ASMEND
	;; [unrolled: 3-line block ×4, first 2 shown]
	s_waitcnt lgkmcnt(0)
	;;#ASMSTART
	v_dot2_f32_f16 v10, v57, v65, v10
	;;#ASMEND
	;;#ASMSTART
	v_dot2_f32_f16 v10, v58, v66, v10
	;;#ASMEND
	;; [unrolled: 3-line block ×12, first 2 shown]
	s_barrier
	global_load_dwordx4 v[53:56], v[1:2], off offset:384
	global_load_dwordx4 v[57:60], v[3:4], off offset:384
	s_waitcnt vmcnt(1)
	ds_write_b128 v17, v[53:56]
	s_waitcnt vmcnt(0)
	ds_write_b128 v18, v[57:60]
	s_waitcnt lgkmcnt(0)
	s_barrier
	ds_read_b128 v[53:56], v15 offset:384
	ds_read_b128 v[57:60], v19
	ds_read_b128 v[61:64], v19 offset:4608
	ds_read_b128 v[65:68], v15 offset:1536
	s_waitcnt lgkmcnt(2)
	;;#ASMSTART
	v_dot2_f32_f16 v51, v57, v53, v51
	;;#ASMEND
	;;#ASMSTART
	v_dot2_f32_f16 v51, v58, v54, v51
	;;#ASMEND
	;;#ASMSTART
	v_dot2_f32_f16 v51, v59, v55, v51
	;;#ASMEND
	;;#ASMSTART
	v_dot2_f32_f16 v51, v60, v56, v51
	;;#ASMEND
	s_waitcnt lgkmcnt(0)
	;;#ASMSTART
	v_dot2_f32_f16 v10, v57, v65, v10
	;;#ASMEND
	;;#ASMSTART
	v_dot2_f32_f16 v10, v58, v66, v10
	;;#ASMEND
	;;#ASMSTART
	v_dot2_f32_f16 v10, v59, v67, v10
	;;#ASMEND
	;;#ASMSTART
	v_dot2_f32_f16 v10, v60, v68, v10
	;;#ASMEND
	;;#ASMSTART
	v_dot2_f32_f16 v52, v61, v53, v52
	;;#ASMEND
	;;#ASMSTART
	v_dot2_f32_f16 v52, v62, v54, v52
	;;#ASMEND
	;;#ASMSTART
	v_dot2_f32_f16 v52, v63, v55, v52
	;;#ASMEND
	;;#ASMSTART
	v_dot2_f32_f16 v52, v64, v56, v52
	;;#ASMEND
	;;#ASMSTART
	v_dot2_f32_f16 v11, v61, v65, v11
	;;#ASMEND
	;;#ASMSTART
	v_dot2_f32_f16 v11, v62, v66, v11
	;;#ASMEND
	;;#ASMSTART
	v_dot2_f32_f16 v11, v63, v67, v11
	;;#ASMEND
	;;#ASMSTART
	v_dot2_f32_f16 v11, v64, v68, v11
	;;#ASMEND
	ds_read_b128 v[53:56], v15 offset:400
	ds_read_b128 v[57:60], v19 offset:16
	ds_read_b128 v[61:64], v19 offset:4624
	ds_read_b128 v[65:68], v15 offset:1552
	s_waitcnt lgkmcnt(2)
	;;#ASMSTART
	v_dot2_f32_f16 v51, v57, v53, v51
	;;#ASMEND
	;;#ASMSTART
	v_dot2_f32_f16 v51, v58, v54, v51
	;;#ASMEND
	;;#ASMSTART
	v_dot2_f32_f16 v51, v59, v55, v51
	;;#ASMEND
	;;#ASMSTART
	v_dot2_f32_f16 v51, v60, v56, v51
	;;#ASMEND
	s_waitcnt lgkmcnt(0)
	;;#ASMSTART
	v_dot2_f32_f16 v10, v57, v65, v10
	;;#ASMEND
	;;#ASMSTART
	v_dot2_f32_f16 v10, v58, v66, v10
	;;#ASMEND
	;;#ASMSTART
	v_dot2_f32_f16 v10, v59, v67, v10
	;;#ASMEND
	;;#ASMSTART
	v_dot2_f32_f16 v10, v60, v68, v10
	;;#ASMEND
	;;#ASMSTART
	v_dot2_f32_f16 v52, v61, v53, v52
	;;#ASMEND
	;;#ASMSTART
	v_dot2_f32_f16 v52, v62, v54, v52
	;;#ASMEND
	;;#ASMSTART
	v_dot2_f32_f16 v52, v63, v55, v52
	;;#ASMEND
	;;#ASMSTART
	v_dot2_f32_f16 v52, v64, v56, v52
	;;#ASMEND
	;;#ASMSTART
	v_dot2_f32_f16 v11, v61, v65, v11
	;;#ASMEND
	;;#ASMSTART
	v_dot2_f32_f16 v11, v62, v66, v11
	;;#ASMEND
	;;#ASMSTART
	v_dot2_f32_f16 v11, v63, v67, v11
	;;#ASMEND
	;;#ASMSTART
	v_dot2_f32_f16 v11, v64, v68, v11
	;;#ASMEND
	ds_read_b128 v[53:56], v15 offset:416
	ds_read_b128 v[57:60], v19 offset:32
	;; [unrolled: 54-line block ×7, first 2 shown]
	ds_read_b128 v[61:64], v19 offset:4720
	ds_read_b128 v[65:68], v15 offset:1648
	s_waitcnt lgkmcnt(2)
	;;#ASMSTART
	v_dot2_f32_f16 v51, v57, v53, v51
	;;#ASMEND
	;;#ASMSTART
	v_dot2_f32_f16 v51, v58, v54, v51
	;;#ASMEND
	;; [unrolled: 3-line block ×4, first 2 shown]
	s_waitcnt lgkmcnt(0)
	;;#ASMSTART
	v_dot2_f32_f16 v10, v57, v65, v10
	;;#ASMEND
	;;#ASMSTART
	v_dot2_f32_f16 v10, v58, v66, v10
	;;#ASMEND
	;; [unrolled: 3-line block ×12, first 2 shown]
	s_barrier
	global_load_dwordx4 v[53:56], v[1:2], off offset:512
	global_load_dwordx4 v[57:60], v[3:4], off offset:512
	s_waitcnt vmcnt(1)
	ds_write_b128 v17, v[53:56]
	s_waitcnt vmcnt(0)
	ds_write_b128 v18, v[57:60]
	s_waitcnt lgkmcnt(0)
	s_barrier
	ds_read_b128 v[53:56], v15 offset:512
	ds_read_b128 v[57:60], v19
	ds_read_b128 v[61:64], v19 offset:4608
	ds_read_b128 v[65:68], v15 offset:1664
	s_waitcnt lgkmcnt(2)
	;;#ASMSTART
	v_dot2_f32_f16 v51, v57, v53, v51
	;;#ASMEND
	;;#ASMSTART
	v_dot2_f32_f16 v51, v58, v54, v51
	;;#ASMEND
	;;#ASMSTART
	v_dot2_f32_f16 v51, v59, v55, v51
	;;#ASMEND
	;;#ASMSTART
	v_dot2_f32_f16 v51, v60, v56, v51
	;;#ASMEND
	s_waitcnt lgkmcnt(0)
	;;#ASMSTART
	v_dot2_f32_f16 v10, v57, v65, v10
	;;#ASMEND
	;;#ASMSTART
	v_dot2_f32_f16 v10, v58, v66, v10
	;;#ASMEND
	;;#ASMSTART
	v_dot2_f32_f16 v10, v59, v67, v10
	;;#ASMEND
	;;#ASMSTART
	v_dot2_f32_f16 v10, v60, v68, v10
	;;#ASMEND
	;;#ASMSTART
	v_dot2_f32_f16 v52, v61, v53, v52
	;;#ASMEND
	;;#ASMSTART
	v_dot2_f32_f16 v52, v62, v54, v52
	;;#ASMEND
	;;#ASMSTART
	v_dot2_f32_f16 v52, v63, v55, v52
	;;#ASMEND
	;;#ASMSTART
	v_dot2_f32_f16 v52, v64, v56, v52
	;;#ASMEND
	;;#ASMSTART
	v_dot2_f32_f16 v11, v61, v65, v11
	;;#ASMEND
	;;#ASMSTART
	v_dot2_f32_f16 v11, v62, v66, v11
	;;#ASMEND
	;;#ASMSTART
	v_dot2_f32_f16 v11, v63, v67, v11
	;;#ASMEND
	;;#ASMSTART
	v_dot2_f32_f16 v11, v64, v68, v11
	;;#ASMEND
	ds_read_b128 v[53:56], v15 offset:528
	ds_read_b128 v[57:60], v19 offset:16
	ds_read_b128 v[61:64], v19 offset:4624
	ds_read_b128 v[65:68], v15 offset:1680
	s_waitcnt lgkmcnt(2)
	;;#ASMSTART
	v_dot2_f32_f16 v51, v57, v53, v51
	;;#ASMEND
	;;#ASMSTART
	v_dot2_f32_f16 v51, v58, v54, v51
	;;#ASMEND
	;;#ASMSTART
	v_dot2_f32_f16 v51, v59, v55, v51
	;;#ASMEND
	;;#ASMSTART
	v_dot2_f32_f16 v51, v60, v56, v51
	;;#ASMEND
	s_waitcnt lgkmcnt(0)
	;;#ASMSTART
	v_dot2_f32_f16 v10, v57, v65, v10
	;;#ASMEND
	;;#ASMSTART
	v_dot2_f32_f16 v10, v58, v66, v10
	;;#ASMEND
	;;#ASMSTART
	v_dot2_f32_f16 v10, v59, v67, v10
	;;#ASMEND
	;;#ASMSTART
	v_dot2_f32_f16 v10, v60, v68, v10
	;;#ASMEND
	;;#ASMSTART
	v_dot2_f32_f16 v52, v61, v53, v52
	;;#ASMEND
	;;#ASMSTART
	v_dot2_f32_f16 v52, v62, v54, v52
	;;#ASMEND
	;;#ASMSTART
	v_dot2_f32_f16 v52, v63, v55, v52
	;;#ASMEND
	;;#ASMSTART
	v_dot2_f32_f16 v52, v64, v56, v52
	;;#ASMEND
	;;#ASMSTART
	v_dot2_f32_f16 v11, v61, v65, v11
	;;#ASMEND
	;;#ASMSTART
	v_dot2_f32_f16 v11, v62, v66, v11
	;;#ASMEND
	;;#ASMSTART
	v_dot2_f32_f16 v11, v63, v67, v11
	;;#ASMEND
	;;#ASMSTART
	v_dot2_f32_f16 v11, v64, v68, v11
	;;#ASMEND
	ds_read_b128 v[53:56], v15 offset:544
	ds_read_b128 v[57:60], v19 offset:32
	;; [unrolled: 54-line block ×7, first 2 shown]
	ds_read_b128 v[61:64], v19 offset:4720
	ds_read_b128 v[65:68], v15 offset:1776
	s_waitcnt lgkmcnt(2)
	;;#ASMSTART
	v_dot2_f32_f16 v51, v57, v53, v51
	;;#ASMEND
	;;#ASMSTART
	v_dot2_f32_f16 v51, v58, v54, v51
	;;#ASMEND
	;;#ASMSTART
	v_dot2_f32_f16 v51, v59, v55, v51
	;;#ASMEND
	;;#ASMSTART
	v_dot2_f32_f16 v51, v60, v56, v51
	;;#ASMEND
	s_waitcnt lgkmcnt(0)
	;;#ASMSTART
	v_dot2_f32_f16 v10, v57, v65, v10
	;;#ASMEND
	;;#ASMSTART
	v_dot2_f32_f16 v10, v58, v66, v10
	;;#ASMEND
	;; [unrolled: 3-line block ×12, first 2 shown]
	s_barrier
	global_load_dwordx4 v[53:56], v[1:2], off offset:640
	global_load_dwordx4 v[57:60], v[3:4], off offset:640
	s_waitcnt vmcnt(1)
	ds_write_b128 v17, v[53:56]
	s_waitcnt vmcnt(0)
	ds_write_b128 v18, v[57:60]
	s_waitcnt lgkmcnt(0)
	s_barrier
	ds_read_b128 v[53:56], v15 offset:640
	ds_read_b128 v[57:60], v19
	ds_read_b128 v[61:64], v19 offset:4608
	ds_read_b128 v[65:68], v15 offset:1792
	s_waitcnt lgkmcnt(2)
	;;#ASMSTART
	v_dot2_f32_f16 v51, v57, v53, v51
	;;#ASMEND
	;;#ASMSTART
	v_dot2_f32_f16 v51, v58, v54, v51
	;;#ASMEND
	;;#ASMSTART
	v_dot2_f32_f16 v51, v59, v55, v51
	;;#ASMEND
	;;#ASMSTART
	v_dot2_f32_f16 v51, v60, v56, v51
	;;#ASMEND
	s_waitcnt lgkmcnt(0)
	;;#ASMSTART
	v_dot2_f32_f16 v10, v57, v65, v10
	;;#ASMEND
	;;#ASMSTART
	v_dot2_f32_f16 v10, v58, v66, v10
	;;#ASMEND
	;;#ASMSTART
	v_dot2_f32_f16 v10, v59, v67, v10
	;;#ASMEND
	;;#ASMSTART
	v_dot2_f32_f16 v10, v60, v68, v10
	;;#ASMEND
	;;#ASMSTART
	v_dot2_f32_f16 v52, v61, v53, v52
	;;#ASMEND
	;;#ASMSTART
	v_dot2_f32_f16 v52, v62, v54, v52
	;;#ASMEND
	;;#ASMSTART
	v_dot2_f32_f16 v52, v63, v55, v52
	;;#ASMEND
	;;#ASMSTART
	v_dot2_f32_f16 v52, v64, v56, v52
	;;#ASMEND
	;;#ASMSTART
	v_dot2_f32_f16 v11, v61, v65, v11
	;;#ASMEND
	;;#ASMSTART
	v_dot2_f32_f16 v11, v62, v66, v11
	;;#ASMEND
	;;#ASMSTART
	v_dot2_f32_f16 v11, v63, v67, v11
	;;#ASMEND
	;;#ASMSTART
	v_dot2_f32_f16 v11, v64, v68, v11
	;;#ASMEND
	ds_read_b128 v[53:56], v15 offset:656
	ds_read_b128 v[57:60], v19 offset:16
	ds_read_b128 v[61:64], v19 offset:4624
	ds_read_b128 v[65:68], v15 offset:1808
	s_waitcnt lgkmcnt(2)
	;;#ASMSTART
	v_dot2_f32_f16 v51, v57, v53, v51
	;;#ASMEND
	;;#ASMSTART
	v_dot2_f32_f16 v51, v58, v54, v51
	;;#ASMEND
	;;#ASMSTART
	v_dot2_f32_f16 v51, v59, v55, v51
	;;#ASMEND
	;;#ASMSTART
	v_dot2_f32_f16 v51, v60, v56, v51
	;;#ASMEND
	s_waitcnt lgkmcnt(0)
	;;#ASMSTART
	v_dot2_f32_f16 v10, v57, v65, v10
	;;#ASMEND
	;;#ASMSTART
	v_dot2_f32_f16 v10, v58, v66, v10
	;;#ASMEND
	;;#ASMSTART
	v_dot2_f32_f16 v10, v59, v67, v10
	;;#ASMEND
	;;#ASMSTART
	v_dot2_f32_f16 v10, v60, v68, v10
	;;#ASMEND
	;;#ASMSTART
	v_dot2_f32_f16 v52, v61, v53, v52
	;;#ASMEND
	;;#ASMSTART
	v_dot2_f32_f16 v52, v62, v54, v52
	;;#ASMEND
	;;#ASMSTART
	v_dot2_f32_f16 v52, v63, v55, v52
	;;#ASMEND
	;;#ASMSTART
	v_dot2_f32_f16 v52, v64, v56, v52
	;;#ASMEND
	;;#ASMSTART
	v_dot2_f32_f16 v11, v61, v65, v11
	;;#ASMEND
	;;#ASMSTART
	v_dot2_f32_f16 v11, v62, v66, v11
	;;#ASMEND
	;;#ASMSTART
	v_dot2_f32_f16 v11, v63, v67, v11
	;;#ASMEND
	;;#ASMSTART
	v_dot2_f32_f16 v11, v64, v68, v11
	;;#ASMEND
	ds_read_b128 v[53:56], v15 offset:672
	ds_read_b128 v[57:60], v19 offset:32
	;; [unrolled: 54-line block ×7, first 2 shown]
	ds_read_b128 v[61:64], v19 offset:4720
	ds_read_b128 v[65:68], v15 offset:1904
	s_waitcnt lgkmcnt(2)
	;;#ASMSTART
	v_dot2_f32_f16 v51, v57, v53, v51
	;;#ASMEND
	;;#ASMSTART
	v_dot2_f32_f16 v51, v58, v54, v51
	;;#ASMEND
	;; [unrolled: 3-line block ×4, first 2 shown]
	s_waitcnt lgkmcnt(0)
	;;#ASMSTART
	v_dot2_f32_f16 v10, v57, v65, v10
	;;#ASMEND
	;;#ASMSTART
	v_dot2_f32_f16 v10, v58, v66, v10
	;;#ASMEND
	;; [unrolled: 3-line block ×12, first 2 shown]
	s_barrier
	global_load_dwordx4 v[53:56], v[1:2], off offset:768
	global_load_dwordx4 v[57:60], v[3:4], off offset:768
	s_waitcnt vmcnt(1)
	ds_write_b128 v17, v[53:56]
	s_waitcnt vmcnt(0)
	ds_write_b128 v18, v[57:60]
	s_waitcnt lgkmcnt(0)
	s_barrier
	ds_read_b128 v[53:56], v15 offset:768
	ds_read_b128 v[57:60], v19
	ds_read_b128 v[61:64], v19 offset:4608
	ds_read_b128 v[65:68], v15 offset:1920
	s_waitcnt lgkmcnt(2)
	;;#ASMSTART
	v_dot2_f32_f16 v51, v57, v53, v51
	;;#ASMEND
	;;#ASMSTART
	v_dot2_f32_f16 v51, v58, v54, v51
	;;#ASMEND
	;;#ASMSTART
	v_dot2_f32_f16 v51, v59, v55, v51
	;;#ASMEND
	;;#ASMSTART
	v_dot2_f32_f16 v51, v60, v56, v51
	;;#ASMEND
	s_waitcnt lgkmcnt(0)
	;;#ASMSTART
	v_dot2_f32_f16 v10, v57, v65, v10
	;;#ASMEND
	;;#ASMSTART
	v_dot2_f32_f16 v10, v58, v66, v10
	;;#ASMEND
	;;#ASMSTART
	v_dot2_f32_f16 v10, v59, v67, v10
	;;#ASMEND
	;;#ASMSTART
	v_dot2_f32_f16 v10, v60, v68, v10
	;;#ASMEND
	;;#ASMSTART
	v_dot2_f32_f16 v52, v61, v53, v52
	;;#ASMEND
	;;#ASMSTART
	v_dot2_f32_f16 v52, v62, v54, v52
	;;#ASMEND
	;;#ASMSTART
	v_dot2_f32_f16 v52, v63, v55, v52
	;;#ASMEND
	;;#ASMSTART
	v_dot2_f32_f16 v52, v64, v56, v52
	;;#ASMEND
	;;#ASMSTART
	v_dot2_f32_f16 v11, v61, v65, v11
	;;#ASMEND
	;;#ASMSTART
	v_dot2_f32_f16 v11, v62, v66, v11
	;;#ASMEND
	;;#ASMSTART
	v_dot2_f32_f16 v11, v63, v67, v11
	;;#ASMEND
	;;#ASMSTART
	v_dot2_f32_f16 v11, v64, v68, v11
	;;#ASMEND
	ds_read_b128 v[53:56], v15 offset:784
	ds_read_b128 v[57:60], v19 offset:16
	ds_read_b128 v[61:64], v19 offset:4624
	ds_read_b128 v[65:68], v15 offset:1936
	s_waitcnt lgkmcnt(2)
	;;#ASMSTART
	v_dot2_f32_f16 v51, v57, v53, v51
	;;#ASMEND
	;;#ASMSTART
	v_dot2_f32_f16 v51, v58, v54, v51
	;;#ASMEND
	;;#ASMSTART
	v_dot2_f32_f16 v51, v59, v55, v51
	;;#ASMEND
	;;#ASMSTART
	v_dot2_f32_f16 v51, v60, v56, v51
	;;#ASMEND
	s_waitcnt lgkmcnt(0)
	;;#ASMSTART
	v_dot2_f32_f16 v10, v57, v65, v10
	;;#ASMEND
	;;#ASMSTART
	v_dot2_f32_f16 v10, v58, v66, v10
	;;#ASMEND
	;;#ASMSTART
	v_dot2_f32_f16 v10, v59, v67, v10
	;;#ASMEND
	;;#ASMSTART
	v_dot2_f32_f16 v10, v60, v68, v10
	;;#ASMEND
	;;#ASMSTART
	v_dot2_f32_f16 v52, v61, v53, v52
	;;#ASMEND
	;;#ASMSTART
	v_dot2_f32_f16 v52, v62, v54, v52
	;;#ASMEND
	;;#ASMSTART
	v_dot2_f32_f16 v52, v63, v55, v52
	;;#ASMEND
	;;#ASMSTART
	v_dot2_f32_f16 v52, v64, v56, v52
	;;#ASMEND
	;;#ASMSTART
	v_dot2_f32_f16 v11, v61, v65, v11
	;;#ASMEND
	;;#ASMSTART
	v_dot2_f32_f16 v11, v62, v66, v11
	;;#ASMEND
	;;#ASMSTART
	v_dot2_f32_f16 v11, v63, v67, v11
	;;#ASMEND
	;;#ASMSTART
	v_dot2_f32_f16 v11, v64, v68, v11
	;;#ASMEND
	ds_read_b128 v[53:56], v15 offset:800
	ds_read_b128 v[57:60], v19 offset:32
	;; [unrolled: 54-line block ×7, first 2 shown]
	ds_read_b128 v[61:64], v19 offset:4720
	ds_read_b128 v[65:68], v15 offset:2032
	s_waitcnt lgkmcnt(2)
	;;#ASMSTART
	v_dot2_f32_f16 v51, v57, v53, v51
	;;#ASMEND
	;;#ASMSTART
	v_dot2_f32_f16 v51, v58, v54, v51
	;;#ASMEND
	;; [unrolled: 3-line block ×4, first 2 shown]
	s_waitcnt lgkmcnt(0)
	;;#ASMSTART
	v_dot2_f32_f16 v10, v57, v65, v10
	;;#ASMEND
	;;#ASMSTART
	v_dot2_f32_f16 v10, v58, v66, v10
	;;#ASMEND
	;; [unrolled: 3-line block ×12, first 2 shown]
	s_barrier
	global_load_dwordx4 v[53:56], v[1:2], off offset:896
	global_load_dwordx4 v[57:60], v[3:4], off offset:896
	s_waitcnt vmcnt(1)
	ds_write_b128 v17, v[53:56]
	s_waitcnt vmcnt(0)
	ds_write_b128 v18, v[57:60]
	s_waitcnt lgkmcnt(0)
	s_barrier
	ds_read_b128 v[53:56], v15 offset:896
	ds_read_b128 v[57:60], v19
	ds_read_b128 v[61:64], v19 offset:4608
	ds_read_b128 v[65:68], v15 offset:2048
	s_waitcnt lgkmcnt(2)
	;;#ASMSTART
	v_dot2_f32_f16 v51, v57, v53, v51
	;;#ASMEND
	;;#ASMSTART
	v_dot2_f32_f16 v51, v58, v54, v51
	;;#ASMEND
	;;#ASMSTART
	v_dot2_f32_f16 v51, v59, v55, v51
	;;#ASMEND
	;;#ASMSTART
	v_dot2_f32_f16 v51, v60, v56, v51
	;;#ASMEND
	s_waitcnt lgkmcnt(0)
	;;#ASMSTART
	v_dot2_f32_f16 v10, v57, v65, v10
	;;#ASMEND
	;;#ASMSTART
	v_dot2_f32_f16 v10, v58, v66, v10
	;;#ASMEND
	;;#ASMSTART
	v_dot2_f32_f16 v10, v59, v67, v10
	;;#ASMEND
	;;#ASMSTART
	v_dot2_f32_f16 v10, v60, v68, v10
	;;#ASMEND
	;;#ASMSTART
	v_dot2_f32_f16 v52, v61, v53, v52
	;;#ASMEND
	;;#ASMSTART
	v_dot2_f32_f16 v52, v62, v54, v52
	;;#ASMEND
	;;#ASMSTART
	v_dot2_f32_f16 v52, v63, v55, v52
	;;#ASMEND
	;;#ASMSTART
	v_dot2_f32_f16 v52, v64, v56, v52
	;;#ASMEND
	;;#ASMSTART
	v_dot2_f32_f16 v11, v61, v65, v11
	;;#ASMEND
	;;#ASMSTART
	v_dot2_f32_f16 v11, v62, v66, v11
	;;#ASMEND
	;;#ASMSTART
	v_dot2_f32_f16 v11, v63, v67, v11
	;;#ASMEND
	;;#ASMSTART
	v_dot2_f32_f16 v11, v64, v68, v11
	;;#ASMEND
	ds_read_b128 v[53:56], v15 offset:912
	ds_read_b128 v[57:60], v19 offset:16
	ds_read_b128 v[61:64], v19 offset:4624
	ds_read_b128 v[65:68], v15 offset:2064
	s_waitcnt lgkmcnt(2)
	;;#ASMSTART
	v_dot2_f32_f16 v51, v57, v53, v51
	;;#ASMEND
	;;#ASMSTART
	v_dot2_f32_f16 v51, v58, v54, v51
	;;#ASMEND
	;;#ASMSTART
	v_dot2_f32_f16 v51, v59, v55, v51
	;;#ASMEND
	;;#ASMSTART
	v_dot2_f32_f16 v51, v60, v56, v51
	;;#ASMEND
	s_waitcnt lgkmcnt(0)
	;;#ASMSTART
	v_dot2_f32_f16 v10, v57, v65, v10
	;;#ASMEND
	;;#ASMSTART
	v_dot2_f32_f16 v10, v58, v66, v10
	;;#ASMEND
	;;#ASMSTART
	v_dot2_f32_f16 v10, v59, v67, v10
	;;#ASMEND
	;;#ASMSTART
	v_dot2_f32_f16 v10, v60, v68, v10
	;;#ASMEND
	;;#ASMSTART
	v_dot2_f32_f16 v52, v61, v53, v52
	;;#ASMEND
	;;#ASMSTART
	v_dot2_f32_f16 v52, v62, v54, v52
	;;#ASMEND
	;;#ASMSTART
	v_dot2_f32_f16 v52, v63, v55, v52
	;;#ASMEND
	;;#ASMSTART
	v_dot2_f32_f16 v52, v64, v56, v52
	;;#ASMEND
	;;#ASMSTART
	v_dot2_f32_f16 v11, v61, v65, v11
	;;#ASMEND
	;;#ASMSTART
	v_dot2_f32_f16 v11, v62, v66, v11
	;;#ASMEND
	;;#ASMSTART
	v_dot2_f32_f16 v11, v63, v67, v11
	;;#ASMEND
	;;#ASMSTART
	v_dot2_f32_f16 v11, v64, v68, v11
	;;#ASMEND
	ds_read_b128 v[53:56], v15 offset:928
	ds_read_b128 v[57:60], v19 offset:32
	;; [unrolled: 54-line block ×7, first 2 shown]
	ds_read_b128 v[61:64], v19 offset:4720
	ds_read_b128 v[65:68], v15 offset:2160
	s_waitcnt lgkmcnt(2)
	;;#ASMSTART
	v_dot2_f32_f16 v51, v57, v53, v51
	;;#ASMEND
	;;#ASMSTART
	v_dot2_f32_f16 v51, v58, v54, v51
	;;#ASMEND
	;; [unrolled: 3-line block ×4, first 2 shown]
	s_waitcnt lgkmcnt(0)
	;;#ASMSTART
	v_dot2_f32_f16 v10, v57, v65, v10
	;;#ASMEND
	;;#ASMSTART
	v_dot2_f32_f16 v10, v58, v66, v10
	;;#ASMEND
	;; [unrolled: 3-line block ×12, first 2 shown]
	s_barrier
	global_load_dwordx4 v[53:56], v[1:2], off offset:1024
	s_nop 0
	global_load_dwordx4 v[1:4], v[3:4], off offset:1024
	s_waitcnt vmcnt(1)
	ds_write_b128 v17, v[53:56]
	s_waitcnt vmcnt(0)
	ds_write_b128 v18, v[1:4]
	s_waitcnt lgkmcnt(0)
	s_barrier
	ds_read_b128 v[1:4], v15 offset:1024
	ds_read_b128 v[53:56], v19
	ds_read_b128 v[57:60], v19 offset:4608
	ds_read_b128 v[61:64], v15 offset:2176
	s_waitcnt lgkmcnt(2)
	;;#ASMSTART
	v_dot2_f32_f16 v51, v53, v1, v51
	;;#ASMEND
	;;#ASMSTART
	v_dot2_f32_f16 v51, v54, v2, v51
	;;#ASMEND
	;;#ASMSTART
	v_dot2_f32_f16 v51, v55, v3, v51
	;;#ASMEND
	;;#ASMSTART
	v_dot2_f32_f16 v51, v56, v4, v51
	;;#ASMEND
	s_waitcnt lgkmcnt(0)
	;;#ASMSTART
	v_dot2_f32_f16 v10, v53, v61, v10
	;;#ASMEND
	;;#ASMSTART
	v_dot2_f32_f16 v10, v54, v62, v10
	;;#ASMEND
	;;#ASMSTART
	v_dot2_f32_f16 v10, v55, v63, v10
	;;#ASMEND
	;;#ASMSTART
	v_dot2_f32_f16 v10, v56, v64, v10
	;;#ASMEND
	;;#ASMSTART
	v_dot2_f32_f16 v52, v57, v1, v52
	;;#ASMEND
	;;#ASMSTART
	v_dot2_f32_f16 v52, v58, v2, v52
	;;#ASMEND
	;;#ASMSTART
	v_dot2_f32_f16 v52, v59, v3, v52
	;;#ASMEND
	;;#ASMSTART
	v_dot2_f32_f16 v52, v60, v4, v52
	;;#ASMEND
	;;#ASMSTART
	v_dot2_f32_f16 v11, v57, v61, v11
	;;#ASMEND
	;;#ASMSTART
	v_dot2_f32_f16 v11, v58, v62, v11
	;;#ASMEND
	;;#ASMSTART
	v_dot2_f32_f16 v11, v59, v63, v11
	;;#ASMEND
	;;#ASMSTART
	v_dot2_f32_f16 v11, v60, v64, v11
	;;#ASMEND
	ds_read_b128 v[1:4], v15 offset:1040
	ds_read_b128 v[53:56], v19 offset:16
	ds_read_b128 v[57:60], v19 offset:4624
	ds_read_b128 v[61:64], v15 offset:2192
	s_waitcnt lgkmcnt(2)
	;;#ASMSTART
	v_dot2_f32_f16 v51, v53, v1, v51
	;;#ASMEND
	;;#ASMSTART
	v_dot2_f32_f16 v51, v54, v2, v51
	;;#ASMEND
	;;#ASMSTART
	v_dot2_f32_f16 v51, v55, v3, v51
	;;#ASMEND
	;;#ASMSTART
	v_dot2_f32_f16 v51, v56, v4, v51
	;;#ASMEND
	s_waitcnt lgkmcnt(0)
	;;#ASMSTART
	v_dot2_f32_f16 v10, v53, v61, v10
	;;#ASMEND
	;;#ASMSTART
	v_dot2_f32_f16 v10, v54, v62, v10
	;;#ASMEND
	;;#ASMSTART
	v_dot2_f32_f16 v10, v55, v63, v10
	;;#ASMEND
	;;#ASMSTART
	v_dot2_f32_f16 v10, v56, v64, v10
	;;#ASMEND
	;;#ASMSTART
	v_dot2_f32_f16 v52, v57, v1, v52
	;;#ASMEND
	;;#ASMSTART
	v_dot2_f32_f16 v52, v58, v2, v52
	;;#ASMEND
	;;#ASMSTART
	v_dot2_f32_f16 v52, v59, v3, v52
	;;#ASMEND
	;;#ASMSTART
	v_dot2_f32_f16 v52, v60, v4, v52
	;;#ASMEND
	;;#ASMSTART
	v_dot2_f32_f16 v11, v57, v61, v11
	;;#ASMEND
	;;#ASMSTART
	v_dot2_f32_f16 v11, v58, v62, v11
	;;#ASMEND
	;;#ASMSTART
	v_dot2_f32_f16 v11, v59, v63, v11
	;;#ASMEND
	;;#ASMSTART
	v_dot2_f32_f16 v11, v60, v64, v11
	;;#ASMEND
	ds_read_b128 v[1:4], v15 offset:1056
	ds_read_b128 v[53:56], v19 offset:32
	;; [unrolled: 54-line block ×7, first 2 shown]
	ds_read_b128 v[57:60], v19 offset:4720
	ds_read_b128 v[61:64], v15 offset:2288
	s_waitcnt lgkmcnt(2)
	;;#ASMSTART
	v_dot2_f32_f16 v51, v53, v1, v51
	;;#ASMEND
	;;#ASMSTART
	v_dot2_f32_f16 v51, v54, v2, v51
	;;#ASMEND
	;;#ASMSTART
	v_dot2_f32_f16 v51, v55, v3, v51
	;;#ASMEND
	;;#ASMSTART
	v_dot2_f32_f16 v51, v56, v4, v51
	;;#ASMEND
	s_waitcnt lgkmcnt(0)
	;;#ASMSTART
	v_dot2_f32_f16 v10, v53, v61, v10
	;;#ASMEND
	;;#ASMSTART
	v_dot2_f32_f16 v10, v54, v62, v10
	;;#ASMEND
	;; [unrolled: 3-line block ×11, first 2 shown]
	v_cmp_nlt_f32_e64 s[8:9], |v51|, s12
	;;#ASMSTART
	v_dot2_f32_f16 v11, v60, v64, v11
	;;#ASMEND
                                        ; implicit-def: $vgpr4
	s_and_saveexec_b64 s[34:35], s[8:9]
	s_xor_b64 s[8:9], exec, s[34:35]
	s_cbranch_execz .LBB26_18
; %bb.17:                               ;   in Loop: Header=BB26_16 Depth=1
	v_add_f32_e64 v1, |v51|, |v51|
	v_mul_f32_e32 v2, 0x3fb8aa3b, v1
	v_rndne_f32_e32 v3, v2
	v_sub_f32_e32 v4, v2, v3
	v_fma_f32 v2, v1, s13, -v2
	v_fmac_f32_e32 v2, 0x32a5705f, v1
	v_add_f32_e32 v2, v4, v2
	v_cvt_i32_f32_e32 v3, v3
	v_exp_f32_e32 v2, v2
	v_cmp_ngt_f32_e32 vcc, s19, v1
	v_ldexp_f32 v2, v2, v3
	v_cndmask_b32_e32 v2, 0, v2, vcc
	v_cmp_nlt_f32_e32 vcc, s24, v1
	v_cndmask_b32_e32 v1, v30, v2, vcc
	v_add_f32_e32 v1, 1.0, v1
	v_rcp_f32_e32 v1, v1
	v_fma_f32 v4, v1, -2.0, 1.0
.LBB26_18:                              ;   in Loop: Header=BB26_16 Depth=1
	s_andn2_saveexec_b64 s[8:9], s[8:9]
; %bb.19:                               ;   in Loop: Header=BB26_16 Depth=1
	v_mul_f32_e32 v1, v51, v51
	v_mov_b32_e32 v2, 0x3ca908c9
	v_fmac_f32_e32 v2, 0xbbbac73d, v1
	v_fma_f32 v2, v1, v2, v27
	v_fma_f32 v2, v1, v2, v28
	;; [unrolled: 1-line block ×3, first 2 shown]
	v_mul_f32_e64 v2, |v51|, v2
	v_fma_f32 v4, v1, v2, |v51|
; %bb.20:                               ;   in Loop: Header=BB26_16 Depth=1
	s_or_b64 exec, exec, s[8:9]
	v_add_u32_e32 v1, s6, v5
	v_ashrrev_i32_e32 v2, 31, v1
	v_lshlrev_b64 v[1:2], 1, v[1:2]
	v_mov_b32_e32 v3, s31
	v_add_co_u32_e32 v1, vcc, s30, v1
	v_addc_co_u32_e32 v2, vcc, v3, v2, vcc
	global_load_ushort v3, v[1:2], off
	v_cmp_nlt_f32_e64 s[8:9], |v52|, s12
                                        ; implicit-def: $vgpr53
	s_and_saveexec_b64 s[34:35], s[8:9]
	s_xor_b64 s[8:9], exec, s[34:35]
	s_cbranch_execz .LBB26_22
; %bb.21:                               ;   in Loop: Header=BB26_16 Depth=1
	v_add_f32_e64 v53, |v52|, |v52|
	v_mul_f32_e32 v54, 0x3fb8aa3b, v53
	v_rndne_f32_e32 v55, v54
	v_sub_f32_e32 v56, v54, v55
	v_fma_f32 v54, v53, s13, -v54
	v_fmac_f32_e32 v54, 0x32a5705f, v53
	v_add_f32_e32 v54, v56, v54
	v_cvt_i32_f32_e32 v55, v55
	v_exp_f32_e32 v54, v54
	v_cmp_ngt_f32_e32 vcc, s19, v53
	v_ldexp_f32 v54, v54, v55
	v_cndmask_b32_e32 v54, 0, v54, vcc
	v_cmp_nlt_f32_e32 vcc, s24, v53
	v_cndmask_b32_e32 v53, v30, v54, vcc
	v_add_f32_e32 v53, 1.0, v53
	v_rcp_f32_e32 v53, v53
	v_fma_f32 v53, v53, -2.0, 1.0
.LBB26_22:                              ;   in Loop: Header=BB26_16 Depth=1
	s_andn2_saveexec_b64 s[8:9], s[8:9]
; %bb.23:                               ;   in Loop: Header=BB26_16 Depth=1
	v_mul_f32_e32 v53, v52, v52
	v_mov_b32_e32 v54, 0x3ca908c9
	v_fmac_f32_e32 v54, 0xbbbac73d, v53
	v_fma_f32 v54, v53, v54, v27
	v_fma_f32 v54, v53, v54, v28
	;; [unrolled: 1-line block ×3, first 2 shown]
	v_mul_f32_e64 v54, |v52|, v54
	v_fma_f32 v53, v53, v54, |v52|
; %bb.24:                               ;   in Loop: Header=BB26_16 Depth=1
	s_or_b64 exec, exec, s[8:9]
	global_load_ushort v61, v[1:2], off offset:64
	v_bfi_b32 v1, s25, v4, v51
	s_waitcnt vmcnt(1)
	v_fma_mix_f32 v2, s14, v1, v3 op_sel_hi:[0,0,1]
	v_and_b32_e32 v1, 0x60, v16
	v_add_u32_e32 v51, 32, v1
	v_xor_b32_e32 v56, 16, v16
	v_cmp_lt_i32_e32 vcc, v56, v51
	v_cndmask_b32_e32 v1, v16, v56, vcc
	v_lshlrev_b32_e32 v59, 2, v1
	v_bfi_b32 v1, s25, v53, v52
	v_add_f32_e32 v4, 0x40051340, v2
	v_cmp_nlt_f32_e64 s[8:9], |v10|, s12
                                        ; implicit-def: $vgpr64
	s_waitcnt vmcnt(0)
	v_fma_mix_f32 v1, s14, v1, v61 op_sel_hi:[0,0,1]
	v_add_f32_e32 v52, 0x40051340, v1
	v_max3_f32 v4, v50, v4, v52
	ds_bpermute_b32 v53, v59, v4
	v_xor_b32_e32 v52, 8, v16
	v_cmp_lt_i32_e32 vcc, v52, v51
	v_cndmask_b32_e32 v54, v16, v52, vcc
	v_lshlrev_b32_e32 v60, 2, v54
	s_waitcnt lgkmcnt(0)
	v_max_f32_e32 v53, v53, v53
	v_max_f32_e32 v4, v4, v53
	ds_bpermute_b32 v54, v60, v4
	v_xor_b32_e32 v53, 4, v16
	v_cmp_lt_i32_e32 vcc, v53, v51
	v_cndmask_b32_e32 v55, v16, v53, vcc
	v_lshlrev_b32_e32 v58, 2, v55
	s_waitcnt lgkmcnt(0)
	v_max_f32_e32 v54, v54, v54
	v_max_f32_e32 v4, v4, v54
	ds_bpermute_b32 v55, v58, v4
	v_xor_b32_e32 v54, 2, v16
	v_cmp_lt_i32_e32 vcc, v54, v51
	v_cndmask_b32_e32 v57, v16, v54, vcc
	v_lshlrev_b32_e32 v57, 2, v57
	s_waitcnt lgkmcnt(0)
	v_max_f32_e32 v55, v55, v55
	v_max_f32_e32 v62, v4, v55
	ds_bpermute_b32 v63, v57, v62
	v_xor_b32_e32 v55, 1, v16
	v_cmp_lt_i32_e32 vcc, v55, v51
	v_cndmask_b32_e32 v4, v16, v55, vcc
	v_lshlrev_b32_e32 v4, 2, v4
	s_waitcnt lgkmcnt(0)
	v_max_f32_e32 v63, v63, v63
	v_max_f32_e32 v62, v62, v63
	ds_bpermute_b32 v63, v4, v62
	s_and_saveexec_b64 s[34:35], s[8:9]
	s_xor_b64 s[8:9], exec, s[34:35]
	s_cbranch_execz .LBB26_26
; %bb.25:                               ;   in Loop: Header=BB26_16 Depth=1
	v_add_f32_e64 v64, |v10|, |v10|
	v_mul_f32_e32 v65, 0x3fb8aa3b, v64
	v_rndne_f32_e32 v66, v65
	v_sub_f32_e32 v67, v65, v66
	v_fma_f32 v65, v64, s13, -v65
	v_fmac_f32_e32 v65, 0x32a5705f, v64
	v_add_f32_e32 v65, v67, v65
	v_cvt_i32_f32_e32 v66, v66
	v_exp_f32_e32 v65, v65
	v_cmp_ngt_f32_e32 vcc, s19, v64
	v_ldexp_f32 v65, v65, v66
	v_cndmask_b32_e32 v65, 0, v65, vcc
	v_cmp_nlt_f32_e32 vcc, s24, v64
	v_cndmask_b32_e32 v64, v30, v65, vcc
	v_add_f32_e32 v64, 1.0, v64
	v_rcp_f32_e32 v64, v64
	v_fma_f32 v64, v64, -2.0, 1.0
.LBB26_26:                              ;   in Loop: Header=BB26_16 Depth=1
	s_andn2_saveexec_b64 s[8:9], s[8:9]
; %bb.27:                               ;   in Loop: Header=BB26_16 Depth=1
	v_mul_f32_e32 v64, v10, v10
	v_mov_b32_e32 v65, 0x3ca908c9
	v_fmac_f32_e32 v65, 0xbbbac73d, v64
	v_fma_f32 v65, v64, v65, v27
	v_fma_f32 v65, v64, v65, v28
	;; [unrolled: 1-line block ×3, first 2 shown]
	v_mul_f32_e64 v65, |v10|, v65
	v_fma_f32 v64, v64, v65, |v10|
; %bb.28:                               ;   in Loop: Header=BB26_16 Depth=1
	s_or_b64 exec, exec, s[8:9]
	v_cmp_nlt_f32_e64 s[8:9], |v11|, s12
                                        ; implicit-def: $vgpr65
	s_and_saveexec_b64 s[34:35], s[8:9]
	s_xor_b64 s[8:9], exec, s[34:35]
	s_cbranch_execz .LBB26_30
; %bb.29:                               ;   in Loop: Header=BB26_16 Depth=1
	v_add_f32_e64 v65, |v11|, |v11|
	v_mul_f32_e32 v66, 0x3fb8aa3b, v65
	v_rndne_f32_e32 v67, v66
	v_sub_f32_e32 v68, v66, v67
	v_fma_f32 v66, v65, s13, -v66
	v_fmac_f32_e32 v66, 0x32a5705f, v65
	v_add_f32_e32 v66, v68, v66
	v_cvt_i32_f32_e32 v67, v67
	v_exp_f32_e32 v66, v66
	v_cmp_ngt_f32_e32 vcc, s19, v65
	v_ldexp_f32 v66, v66, v67
	v_cndmask_b32_e32 v66, 0, v66, vcc
	v_cmp_nlt_f32_e32 vcc, s24, v65
	v_cndmask_b32_e32 v65, v30, v66, vcc
	v_add_f32_e32 v65, 1.0, v65
	v_rcp_f32_e32 v65, v65
	v_fma_f32 v65, v65, -2.0, 1.0
.LBB26_30:                              ;   in Loop: Header=BB26_16 Depth=1
	s_andn2_saveexec_b64 s[8:9], s[8:9]
; %bb.31:                               ;   in Loop: Header=BB26_16 Depth=1
	v_mul_f32_e32 v65, v11, v11
	v_mov_b32_e32 v66, 0x3ca908c9
	v_fmac_f32_e32 v66, 0xbbbac73d, v65
	v_fma_f32 v66, v65, v66, v27
	v_fma_f32 v66, v65, v66, v28
	;; [unrolled: 1-line block ×3, first 2 shown]
	v_mul_f32_e64 v66, |v11|, v66
	v_fma_f32 v65, v65, v66, |v11|
; %bb.32:                               ;   in Loop: Header=BB26_16 Depth=1
	s_or_b64 exec, exec, s[8:9]
	v_cvt_f32_f16_e32 v66, v3
	v_cvt_f32_f16_e32 v67, v61
	v_bfi_b32 v3, s25, v64, v10
	v_bfi_b32 v10, s25, v65, v11
	v_fmac_f32_e32 v66, s14, v3
	v_fmac_f32_e32 v67, s14, v10
	v_add_f32_e32 v3, 0x40051340, v66
	v_add_f32_e32 v10, 0x40051340, v67
	v_max3_f32 v3, v48, v3, v10
	ds_bpermute_b32 v10, v59, v3
	s_waitcnt lgkmcnt(1)
	v_max_f32_e32 v11, v63, v63
	s_mul_hi_i32 s9, s6, s15
	s_mul_i32 s8, s6, s15
	s_lshl_b64 s[8:9], s[8:9], 2
	s_waitcnt lgkmcnt(0)
	v_max_f32_e32 v10, v10, v10
	v_max_f32_e32 v3, v3, v10
	ds_bpermute_b32 v59, v60, v3
	v_max_f32_e32 v10, v62, v62
	v_max_f32_e32 v10, v10, v11
	v_sub_f32_e32 v2, v2, v10
	v_sub_f32_e32 v63, v1, v10
	s_waitcnt lgkmcnt(0)
	v_max_f32_e32 v11, v59, v59
	v_max_f32_e32 v3, v3, v11
	ds_bpermute_b32 v11, v58, v3
	v_mul_f32_e32 v58, 0x3fb8aa3b, v2
	v_fma_f32 v59, v2, s13, -v58
	v_rndne_f32_e32 v60, v58
	v_fmac_f32_e32 v59, 0x32a5705f, v2
	s_waitcnt lgkmcnt(0)
	v_max_f32_e32 v11, v11, v11
	v_max_f32_e32 v3, v3, v11
	ds_bpermute_b32 v11, v57, v3
	v_sub_f32_e32 v57, v58, v60
	v_add_f32_e32 v57, v57, v59
	v_cvt_i32_f32_e32 v58, v60
	v_exp_f32_e32 v57, v57
	s_waitcnt lgkmcnt(0)
	v_max_f32_e32 v11, v11, v11
	v_max_f32_e32 v3, v3, v11
	ds_bpermute_b32 v4, v4, v3
	v_ldexp_f32 v57, v57, v58
	v_cmp_ngt_f32_e32 vcc, s19, v2
	v_mul_f32_e32 v1, 0x3fb8aa3b, v63
	v_sub_f32_e32 v50, v50, v10
	s_waitcnt lgkmcnt(0)
	v_max_f32_e32 v4, v4, v4
	v_max_f32_e32 v11, v3, v4
	v_cndmask_b32_e32 v3, 0, v57, vcc
	v_fma_f32 v4, v63, s13, -v1
	v_rndne_f32_e32 v57, v1
	v_fmac_f32_e32 v4, 0x32a5705f, v63
	v_sub_f32_e32 v1, v1, v57
	v_add_f32_e32 v1, v1, v4
	v_exp_f32_e32 v1, v1
	v_cvt_i32_f32_e32 v4, v57
	v_cmp_nlt_f32_e32 vcc, s24, v2
	v_cndmask_b32_e32 v64, v30, v3, vcc
	v_add_co_u32_e32 v57, vcc, s8, v24
	v_ldexp_f32 v68, v1, v4
	v_mul_f32_e32 v1, 0x3fb8aa3b, v50
	v_fma_f32 v2, v50, s13, -v1
	v_rndne_f32_e32 v3, v1
	v_fmac_f32_e32 v2, 0x32a5705f, v50
	v_sub_f32_e32 v1, v1, v3
	v_add_f32_e32 v1, v1, v2
	v_exp_f32_e32 v69, v1
	v_mov_b32_e32 v1, s9
	v_addc_co_u32_e32 v58, vcc, v25, v1, vcc
	s_barrier
	v_cvt_i32_f32_e32 v70, v3
	global_load_dwordx4 v[1:4], v[57:58], off
	global_load_dwordx4 v[59:62], v[57:58], off offset:512
	v_cmp_ngt_f32_e32 vcc, s19, v63
	v_cndmask_b32_e32 v57, 0, v68, vcc
	v_cmp_nlt_f32_e32 vcc, s24, v63
	v_cndmask_b32_e32 v58, v30, v57, vcc
	v_ldexp_f32 v57, v69, v70
	v_cmp_ngt_f32_e32 vcc, s19, v50
	v_cndmask_b32_e32 v57, 0, v57, vcc
	v_cmp_nlt_f32_e32 vcc, s24, v50
	v_cndmask_b32_e32 v50, v30, v57, vcc
	v_cvt_f16_f32_e32 v63, v50
	v_add_f32_e32 v57, v64, v58
	v_fmac_f32_e32 v57, v49, v50
	v_cvt_f16_f32_e32 v65, v64
	v_mul_u32_u24_e32 v49, 0x10001, v63
	v_pk_mul_f16 v69, v42, v49
	v_sub_f32_e32 v42, v66, v11
	v_pk_mul_f16 v70, v43, v49
	v_mul_f32_e32 v43, 0x3fb8aa3b, v42
	v_pk_mul_f16 v63, v44, v49
	v_pk_mul_f16 v68, v45, v49
	v_fma_f32 v44, v42, s13, -v43
	v_rndne_f32_e32 v45, v43
	v_fmac_f32_e32 v44, 0x32a5705f, v42
	v_sub_f32_e32 v43, v43, v45
	v_add_f32_e32 v43, v43, v44
	v_exp_f32_e32 v43, v43
	v_cvt_i32_f32_e32 v44, v45
	v_pk_mul_f16 v71, v41, v49
	v_pk_mul_f16 v50, v46, v49
	;; [unrolled: 1-line block ×3, first 2 shown]
	v_ldexp_f32 v41, v43, v44
	v_sub_f32_e32 v43, v67, v11
	v_mul_f32_e32 v44, 0x3fb8aa3b, v43
	v_fma_f32 v45, v43, s13, -v44
	v_rndne_f32_e32 v46, v44
	v_fmac_f32_e32 v45, 0x32a5705f, v43
	v_sub_f32_e32 v44, v44, v46
	v_add_f32_e32 v44, v44, v45
	v_exp_f32_e32 v44, v44
	v_cvt_i32_f32_e32 v45, v46
	v_sub_f32_e32 v40, v48, v11
	v_cmp_ngt_f32_e32 vcc, s19, v42
	v_cndmask_b32_e32 v41, 0, v41, vcc
	v_ldexp_f32 v44, v44, v45
	v_mul_f32_e32 v45, 0x3fb8aa3b, v40
	v_fma_f32 v46, v40, s13, -v45
	v_rndne_f32_e32 v48, v45
	v_fmac_f32_e32 v46, 0x32a5705f, v40
	v_sub_f32_e32 v45, v45, v48
	v_add_f32_e32 v45, v45, v46
	v_exp_f32_e32 v45, v45
	v_cvt_i32_f32_e32 v46, v48
	v_cmp_nlt_f32_e32 vcc, s24, v42
	v_cndmask_b32_e32 v41, v30, v41, vcc
	v_cmp_ngt_f32_e32 vcc, s19, v43
	v_cndmask_b32_e32 v44, 0, v44, vcc
	v_cmp_nlt_f32_e32 vcc, s24, v43
	v_cndmask_b32_e32 v43, v30, v44, vcc
	v_ldexp_f32 v44, v45, v46
	v_cmp_ngt_f32_e32 vcc, s19, v40
	v_cndmask_b32_e32 v44, 0, v44, vcc
	v_cmp_nlt_f32_e32 vcc, s24, v40
	v_cndmask_b32_e32 v40, v30, v44, vcc
	v_cvt_f16_f32_e32 v44, v40
	v_cvt_f16_f32_e32 v64, v58
	v_cvt_f16_f32_e32 v42, v41
	v_add_f32_e32 v58, v41, v43
	v_cvt_f16_f32_e32 v41, v43
	v_mul_u32_u24_e32 v48, 0x10001, v44
	v_pk_mul_f16 v67, v33, v48
	v_pk_mul_f16 v72, v34, v48
	;; [unrolled: 1-line block ×3, first 2 shown]
	v_add_u32_e32 v32, v20, v14
	v_pack_b32_f16 v33, v65, v42
	v_pack_b32_f16 v34, v64, v41
	v_fmac_f32_e32 v58, v47, v40
	ds_write2_b32 v32, v33, v34 offset1:32
	s_waitcnt vmcnt(1)
	ds_write_b128 v21, v[1:4]
	s_waitcnt vmcnt(0)
	ds_write_b128 v22, v[59:62]
	s_waitcnt lgkmcnt(0)
	s_barrier
	ds_read_b128 v[40:43], v20
	v_pk_mul_f16 v59, v31, v48
	ds_read2_b64 v[31:34], v23 offset1:32
	ds_read2_b64 v[44:47], v23 offset0:64 offset1:96
	ds_read_b128 v[1:4], v20 offset:16
	v_pk_mul_f16 v38, v38, v48
	v_pk_mul_f16 v36, v36, v48
	s_waitcnt lgkmcnt(3)
	v_mul_u32_u24_sdwa v60, v40, s26 dst_sel:DWORD dst_unused:UNUSED_PAD src0_sel:WORD_0 src1_sel:DWORD
	v_mul_u32_u24_sdwa v40, v40, s26 dst_sel:DWORD dst_unused:UNUSED_PAD src0_sel:WORD_1 src1_sel:DWORD
	v_pk_mul_f16 v37, v37, v48
	s_waitcnt lgkmcnt(2)
	v_pk_mul_f16 v61, v31, v60
	v_pk_mul_f16 v31, v31, v40
	v_pk_fma_f16 v39, v39, v49, v61
	v_pk_fma_f16 v48, v35, v48, v31
	;; [unrolled: 1-line block ×8, first 2 shown]
	ds_read2_b64 v[31:34], v23 offset0:128 offset1:160
	ds_read2_b64 v[35:38], v23 offset0:192 offset1:224
	s_waitcnt lgkmcnt(3)
	v_pk_fma_f16 v65, v44, v60, v69
	v_pk_fma_f16 v44, v44, v40, v67
	;; [unrolled: 1-line block ×8, first 2 shown]
	v_mul_u32_u24_sdwa v47, v41, s26 dst_sel:DWORD dst_unused:UNUSED_PAD src0_sel:WORD_0 src1_sel:DWORD
	v_mul_u32_u24_sdwa v41, v41, s26 dst_sel:DWORD dst_unused:UNUSED_PAD src0_sel:WORD_1 src1_sel:DWORD
	s_waitcnt lgkmcnt(1)
	v_pk_fma_f16 v59, v31, v47, v39
	v_pk_fma_f16 v48, v31, v41, v48
	v_add_u32_e32 v31, 0x800, v23
	v_pk_fma_f16 v49, v32, v47, v49
	v_pk_fma_f16 v50, v32, v41, v50
	;; [unrolled: 1-line block ×6, first 2 shown]
	s_waitcnt lgkmcnt(0)
	v_pk_fma_f16 v65, v35, v47, v65
	v_pk_fma_f16 v44, v35, v41, v44
	ds_read2_b64 v[32:35], v31 offset1:32
	v_pk_fma_f16 v67, v36, v47, v67
	v_pk_fma_f16 v45, v36, v41, v45
	;; [unrolled: 1-line block ×6, first 2 shown]
	ds_read2_b64 v[36:39], v31 offset0:64 offset1:96
	v_mul_u32_u24_sdwa v41, v42, s26 dst_sel:DWORD dst_unused:UNUSED_PAD src0_sel:WORD_0 src1_sel:DWORD
	v_mul_u32_u24_sdwa v42, v42, s26 dst_sel:DWORD dst_unused:UNUSED_PAD src0_sel:WORD_1 src1_sel:DWORD
	s_waitcnt lgkmcnt(1)
	v_pk_fma_f16 v59, v32, v41, v59
	v_pk_fma_f16 v48, v32, v42, v48
	;; [unrolled: 1-line block ×8, first 2 shown]
	ds_read2_b64 v[32:35], v31 offset0:128 offset1:160
	s_waitcnt lgkmcnt(1)
	v_pk_fma_f16 v64, v36, v41, v65
	v_pk_fma_f16 v91, v36, v42, v44
	;; [unrolled: 1-line block ×8, first 2 shown]
	ds_read2_b64 v[36:39], v31 offset0:192 offset1:224
	s_or_b32 s8, s6, 8
	s_mul_hi_i32 s9, s8, s15
	s_mul_i32 s8, s8, s15
	v_mul_u32_u24_sdwa v98, v43, s26 dst_sel:DWORD dst_unused:UNUSED_PAD src0_sel:WORD_0 src1_sel:DWORD
	v_mul_u32_u24_sdwa v99, v43, s26 dst_sel:DWORD dst_unused:UNUSED_PAD src0_sel:WORD_1 src1_sel:DWORD
	s_lshl_b64 s[8:9], s[8:9], 2
	s_waitcnt lgkmcnt(1)
	v_pk_fma_f16 v101, v34, v98, v60
	v_pk_fma_f16 v102, v34, v99, v61
	;; [unrolled: 1-line block ×4, first 2 shown]
	v_mov_b32_e32 v35, s9
	v_add_co_u32_e32 v34, vcc, s8, v24
	v_pk_fma_f16 v100, v32, v98, v59
	v_pk_fma_f16 v48, v32, v99, v48
	;; [unrolled: 1-line block ×4, first 2 shown]
	v_add_u32_e32 v33, 0x1000, v23
	v_add_u32_e32 v32, 0x1800, v23
	v_addc_co_u32_e32 v35, vcc, v25, v35, vcc
	s_waitcnt lgkmcnt(0)
	v_pk_fma_f16 v105, v36, v98, v64
	ds_read2_b64 v[40:43], v33 offset1:32
	ds_read2_b64 v[44:47], v33 offset0:64 offset1:96
	ds_read2_b64 v[59:62], v33 offset0:128 offset1:160
	;; [unrolled: 1-line block ×3, first 2 shown]
	ds_read2_b64 v[67:70], v32 offset1:32
	ds_read2_b64 v[71:74], v32 offset0:64 offset1:96
	ds_read2_b64 v[75:78], v32 offset0:128 offset1:160
	;; [unrolled: 1-line block ×3, first 2 shown]
	s_waitcnt lgkmcnt(0)
	s_barrier
	global_load_dwordx4 v[83:86], v[34:35], off
	global_load_dwordx4 v[87:90], v[34:35], off offset:512
	v_pk_fma_f16 v34, v36, v99, v91
	v_pk_fma_f16 v35, v37, v98, v92
	;; [unrolled: 1-line block ×7, first 2 shown]
	v_mul_u32_u24_sdwa v92, v1, s26 dst_sel:DWORD dst_unused:UNUSED_PAD src0_sel:WORD_0 src1_sel:DWORD
	v_mul_u32_u24_sdwa v1, v1, s26 dst_sel:DWORD dst_unused:UNUSED_PAD src0_sel:WORD_1 src1_sel:DWORD
	v_pk_fma_f16 v93, v40, v92, v100
	v_pk_fma_f16 v40, v40, v1, v48
	v_pk_fma_f16 v48, v41, v92, v49
	v_pk_fma_f16 v41, v41, v1, v50
	v_pk_fma_f16 v49, v42, v92, v101
	v_pk_fma_f16 v42, v42, v1, v102
	v_pk_fma_f16 v50, v43, v92, v103
	v_pk_fma_f16 v43, v43, v1, v104
	v_pk_fma_f16 v34, v44, v1, v34
	v_pk_fma_f16 v35, v45, v92, v35
	v_pk_fma_f16 v36, v45, v1, v36
	v_pk_fma_f16 v37, v46, v92, v37
	v_pk_fma_f16 v38, v46, v1, v38
	v_pk_fma_f16 v1, v47, v1, v39
	v_mul_u32_u24_sdwa v39, v2, s26 dst_sel:DWORD dst_unused:UNUSED_PAD src0_sel:WORD_0 src1_sel:DWORD
	v_mul_u32_u24_sdwa v2, v2, s26 dst_sel:DWORD dst_unused:UNUSED_PAD src0_sel:WORD_1 src1_sel:DWORD
	v_pk_fma_f16 v40, v59, v2, v40
	v_pk_fma_f16 v41, v60, v2, v41
	;; [unrolled: 1-line block ×10, first 2 shown]
	v_mul_u32_u24_sdwa v2, v3, s26 dst_sel:DWORD dst_unused:UNUSED_PAD src0_sel:WORD_0 src1_sel:DWORD
	v_mul_u32_u24_sdwa v3, v3, s26 dst_sel:DWORD dst_unused:UNUSED_PAD src0_sel:WORD_1 src1_sel:DWORD
	v_pk_fma_f16 v94, v44, v92, v105
	v_pk_fma_f16 v44, v47, v92, v91
	;; [unrolled: 1-line block ×12, first 2 shown]
	v_mul_u32_u24_sdwa v3, v4, s26 dst_sel:DWORD dst_unused:UNUSED_PAD src0_sel:WORD_0 src1_sel:DWORD
	v_mul_u32_u24_sdwa v4, v4, s26 dst_sel:DWORD dst_unused:UNUSED_PAD src0_sel:WORD_1 src1_sel:DWORD
	v_pk_fma_f16 v45, v59, v39, v93
	v_pk_fma_f16 v46, v60, v39, v48
	;; [unrolled: 1-line block ×10, first 2 shown]
	s_waitcnt vmcnt(1)
	ds_write_b128 v21, v[83:86]
	s_waitcnt vmcnt(0)
	ds_write_b128 v22, v[87:90]
	s_waitcnt lgkmcnt(0)
	s_barrier
	ds_read_b128 v[34:37], v20 offset:32
	v_pk_fma_f16 v44, v67, v2, v45
	v_pk_fma_f16 v45, v68, v2, v46
	;; [unrolled: 1-line block ×18, first 2 shown]
	ds_read2_b64 v[38:41], v23 offset1:32
	ds_read2_b64 v[42:45], v23 offset0:64 offset1:96
	ds_read_b128 v[1:4], v20 offset:48
	s_waitcnt lgkmcnt(3)
	v_mul_u32_u24_sdwa v70, v34, s26 dst_sel:DWORD dst_unused:UNUSED_PAD src0_sel:WORD_0 src1_sel:DWORD
	v_mul_u32_u24_sdwa v34, v34, s26 dst_sel:DWORD dst_unused:UNUSED_PAD src0_sel:WORD_1 src1_sel:DWORD
	s_waitcnt lgkmcnt(2)
	v_pk_fma_f16 v49, v38, v70, v49
	v_pk_fma_f16 v50, v38, v34, v50
	;; [unrolled: 1-line block ×8, first 2 shown]
	s_waitcnt lgkmcnt(1)
	v_pk_fma_f16 v48, v42, v70, v48
	v_pk_fma_f16 v63, v42, v34, v63
	;; [unrolled: 1-line block ×7, first 2 shown]
	ds_read2_b64 v[38:41], v23 offset0:128 offset1:160
	v_pk_fma_f16 v34, v45, v34, v69
	ds_read2_b64 v[42:45], v23 offset0:192 offset1:224
	v_mul_u32_u24_sdwa v69, v35, s26 dst_sel:DWORD dst_unused:UNUSED_PAD src0_sel:WORD_0 src1_sel:DWORD
	v_mul_u32_u24_sdwa v35, v35, s26 dst_sel:DWORD dst_unused:UNUSED_PAD src0_sel:WORD_1 src1_sel:DWORD
	s_waitcnt lgkmcnt(1)
	v_pk_fma_f16 v49, v38, v69, v49
	v_pk_fma_f16 v50, v38, v35, v50
	v_pk_fma_f16 v59, v39, v69, v59
	v_pk_fma_f16 v60, v39, v35, v60
	v_pk_fma_f16 v46, v40, v69, v46
	v_pk_fma_f16 v61, v40, v35, v61
	v_pk_fma_f16 v47, v41, v69, v47
	v_pk_fma_f16 v62, v41, v35, v62
	s_waitcnt lgkmcnt(0)
	v_pk_fma_f16 v48, v42, v69, v48
	v_pk_fma_f16 v63, v42, v35, v63
	;; [unrolled: 1-line block ×7, first 2 shown]
	ds_read2_b64 v[38:41], v31 offset1:32
	v_pk_fma_f16 v34, v45, v35, v34
	ds_read2_b64 v[42:45], v31 offset0:64 offset1:96
	v_mul_u32_u24_sdwa v35, v36, s26 dst_sel:DWORD dst_unused:UNUSED_PAD src0_sel:WORD_0 src1_sel:DWORD
	v_mul_u32_u24_sdwa v36, v36, s26 dst_sel:DWORD dst_unused:UNUSED_PAD src0_sel:WORD_1 src1_sel:DWORD
	s_waitcnt lgkmcnt(1)
	v_pk_fma_f16 v49, v38, v35, v49
	v_pk_fma_f16 v50, v38, v36, v50
	;; [unrolled: 1-line block ×8, first 2 shown]
	s_waitcnt lgkmcnt(0)
	v_pk_fma_f16 v48, v42, v35, v48
	v_pk_fma_f16 v87, v42, v36, v63
	;; [unrolled: 1-line block ×7, first 2 shown]
	ds_read2_b64 v[38:41], v31 offset0:128 offset1:160
	v_pk_fma_f16 v93, v45, v36, v34
	ds_read2_b64 v[42:45], v31 offset0:192 offset1:224
	s_or_b32 s8, s6, 16
	s_mul_hi_i32 s9, s8, s15
	s_mul_i32 s8, s8, s15
	s_lshl_b64 s[8:9], s[8:9], 2
	v_mov_b32_e32 v79, s9
	v_add_co_u32_e32 v83, vcc, s8, v24
	v_mul_u32_u24_sdwa v94, v37, s26 dst_sel:DWORD dst_unused:UNUSED_PAD src0_sel:WORD_0 src1_sel:DWORD
	v_mul_u32_u24_sdwa v95, v37, s26 dst_sel:DWORD dst_unused:UNUSED_PAD src0_sel:WORD_1 src1_sel:DWORD
	v_addc_co_u32_e32 v84, vcc, v25, v79, vcc
	s_waitcnt lgkmcnt(1)
	v_pk_fma_f16 v96, v38, v94, v49
	v_pk_fma_f16 v50, v38, v95, v50
	;; [unrolled: 1-line block ×8, first 2 shown]
	s_waitcnt lgkmcnt(0)
	v_pk_fma_f16 v103, v42, v94, v48
	ds_read2_b64 v[34:37], v33 offset1:32
	ds_read2_b64 v[38:41], v33 offset0:64 offset1:96
	ds_read2_b64 v[46:49], v33 offset0:128 offset1:160
	;; [unrolled: 1-line block ×3, first 2 shown]
	ds_read2_b64 v[63:66], v32 offset1:32
	ds_read2_b64 v[67:70], v32 offset0:64 offset1:96
	ds_read2_b64 v[71:74], v32 offset0:128 offset1:160
	ds_read2_b64 v[75:78], v32 offset0:192 offset1:224
	s_waitcnt lgkmcnt(0)
	s_barrier
	global_load_dwordx4 v[79:82], v[83:84], off
	s_nop 0
	global_load_dwordx4 v[83:86], v[83:84], off offset:512
	v_pk_fma_f16 v42, v42, v95, v87
	v_pk_fma_f16 v87, v43, v94, v88
	;; [unrolled: 1-line block ×7, first 2 shown]
	v_mul_u32_u24_sdwa v90, v1, s26 dst_sel:DWORD dst_unused:UNUSED_PAD src0_sel:WORD_0 src1_sel:DWORD
	v_mul_u32_u24_sdwa v1, v1, s26 dst_sel:DWORD dst_unused:UNUSED_PAD src0_sel:WORD_1 src1_sel:DWORD
	v_pk_fma_f16 v91, v34, v90, v96
	v_pk_fma_f16 v34, v34, v1, v50
	v_pk_fma_f16 v50, v35, v90, v97
	v_pk_fma_f16 v35, v35, v1, v98
	v_pk_fma_f16 v92, v36, v90, v99
	v_pk_fma_f16 v36, v36, v1, v100
	v_pk_fma_f16 v93, v37, v90, v101
	v_pk_fma_f16 v37, v37, v1, v102
	v_pk_fma_f16 v94, v38, v90, v103
	v_pk_fma_f16 v38, v38, v1, v42
	v_pk_fma_f16 v42, v39, v90, v87
	v_pk_fma_f16 v39, v39, v1, v43
	v_pk_fma_f16 v43, v40, v90, v88
	v_pk_fma_f16 v40, v40, v1, v44
	v_pk_fma_f16 v44, v41, v90, v89
	v_pk_fma_f16 v1, v41, v1, v45
	v_mul_u32_u24_sdwa v41, v2, s26 dst_sel:DWORD dst_unused:UNUSED_PAD src0_sel:WORD_0 src1_sel:DWORD
	v_mul_u32_u24_sdwa v2, v2, s26 dst_sel:DWORD dst_unused:UNUSED_PAD src0_sel:WORD_1 src1_sel:DWORD
	v_pk_fma_f16 v34, v46, v2, v34
	v_pk_fma_f16 v35, v47, v2, v35
	v_pk_fma_f16 v36, v48, v2, v36
	v_pk_fma_f16 v37, v49, v2, v37
	v_pk_fma_f16 v38, v59, v2, v38
	v_pk_fma_f16 v39, v60, v2, v39
	v_pk_fma_f16 v40, v61, v2, v40
	v_pk_fma_f16 v1, v62, v2, v1
	v_mul_u32_u24_sdwa v2, v3, s26 dst_sel:DWORD dst_unused:UNUSED_PAD src0_sel:WORD_0 src1_sel:DWORD
	v_mul_u32_u24_sdwa v3, v3, s26 dst_sel:DWORD dst_unused:UNUSED_PAD src0_sel:WORD_1 src1_sel:DWORD
	v_pk_fma_f16 v34, v63, v3, v34
	v_pk_fma_f16 v35, v64, v3, v35
	v_pk_fma_f16 v36, v65, v3, v36
	v_pk_fma_f16 v37, v66, v3, v37
	v_pk_fma_f16 v38, v67, v3, v38
	v_pk_fma_f16 v39, v68, v3, v39
	v_pk_fma_f16 v40, v69, v3, v40
	v_pk_fma_f16 v1, v70, v3, v1
	;; [unrolled: 10-line block ×3, first 2 shown]
	v_pk_fma_f16 v50, v71, v4, v34
	v_pk_fma_f16 v60, v72, v4, v35
	;; [unrolled: 1-line block ×4, first 2 shown]
	s_waitcnt vmcnt(1)
	ds_write_b128 v21, v[79:82]
	s_waitcnt vmcnt(0)
	ds_write_b128 v22, v[83:86]
	s_waitcnt lgkmcnt(0)
	s_barrier
	ds_read_b128 v[34:37], v20 offset:64
	v_pk_fma_f16 v44, v63, v2, v45
	v_pk_fma_f16 v45, v64, v2, v46
	;; [unrolled: 1-line block ×20, first 2 shown]
	ds_read2_b64 v[38:41], v23 offset1:32
	ds_read2_b64 v[42:45], v23 offset0:64 offset1:96
	ds_read_b128 v[1:4], v20 offset:80
	s_waitcnt lgkmcnt(3)
	v_mul_u32_u24_sdwa v70, v34, s26 dst_sel:DWORD dst_unused:UNUSED_PAD src0_sel:WORD_0 src1_sel:DWORD
	v_mul_u32_u24_sdwa v34, v34, s26 dst_sel:DWORD dst_unused:UNUSED_PAD src0_sel:WORD_1 src1_sel:DWORD
	s_waitcnt lgkmcnt(2)
	v_pk_fma_f16 v49, v38, v70, v49
	v_pk_fma_f16 v50, v38, v34, v50
	;; [unrolled: 1-line block ×8, first 2 shown]
	s_waitcnt lgkmcnt(1)
	v_pk_fma_f16 v48, v42, v70, v48
	v_pk_fma_f16 v63, v42, v34, v63
	v_pk_fma_f16 v64, v43, v70, v64
	v_pk_fma_f16 v65, v43, v34, v65
	v_pk_fma_f16 v66, v44, v70, v66
	v_pk_fma_f16 v67, v44, v34, v67
	v_pk_fma_f16 v68, v45, v70, v68
	ds_read2_b64 v[38:41], v23 offset0:128 offset1:160
	v_pk_fma_f16 v34, v45, v34, v69
	ds_read2_b64 v[42:45], v23 offset0:192 offset1:224
	v_mul_u32_u24_sdwa v69, v35, s26 dst_sel:DWORD dst_unused:UNUSED_PAD src0_sel:WORD_0 src1_sel:DWORD
	v_mul_u32_u24_sdwa v35, v35, s26 dst_sel:DWORD dst_unused:UNUSED_PAD src0_sel:WORD_1 src1_sel:DWORD
	s_waitcnt lgkmcnt(1)
	v_pk_fma_f16 v49, v38, v69, v49
	v_pk_fma_f16 v50, v38, v35, v50
	;; [unrolled: 1-line block ×8, first 2 shown]
	s_waitcnt lgkmcnt(0)
	v_pk_fma_f16 v48, v42, v69, v48
	v_pk_fma_f16 v63, v42, v35, v63
	;; [unrolled: 1-line block ×7, first 2 shown]
	ds_read2_b64 v[38:41], v31 offset1:32
	v_pk_fma_f16 v34, v45, v35, v34
	ds_read2_b64 v[42:45], v31 offset0:64 offset1:96
	v_mul_u32_u24_sdwa v35, v36, s26 dst_sel:DWORD dst_unused:UNUSED_PAD src0_sel:WORD_0 src1_sel:DWORD
	v_mul_u32_u24_sdwa v36, v36, s26 dst_sel:DWORD dst_unused:UNUSED_PAD src0_sel:WORD_1 src1_sel:DWORD
	s_waitcnt lgkmcnt(1)
	v_pk_fma_f16 v49, v38, v35, v49
	v_pk_fma_f16 v50, v38, v36, v50
	;; [unrolled: 1-line block ×8, first 2 shown]
	s_waitcnt lgkmcnt(0)
	v_pk_fma_f16 v48, v42, v35, v48
	v_pk_fma_f16 v87, v42, v36, v63
	;; [unrolled: 1-line block ×7, first 2 shown]
	ds_read2_b64 v[38:41], v31 offset0:128 offset1:160
	v_pk_fma_f16 v93, v45, v36, v34
	ds_read2_b64 v[42:45], v31 offset0:192 offset1:224
	s_or_b32 s8, s6, 24
	s_mul_hi_i32 s9, s8, s15
	s_mul_i32 s8, s8, s15
	s_lshl_b64 s[8:9], s[8:9], 2
	v_mov_b32_e32 v79, s9
	v_add_co_u32_e32 v83, vcc, s8, v24
	v_mul_u32_u24_sdwa v94, v37, s26 dst_sel:DWORD dst_unused:UNUSED_PAD src0_sel:WORD_0 src1_sel:DWORD
	v_mul_u32_u24_sdwa v95, v37, s26 dst_sel:DWORD dst_unused:UNUSED_PAD src0_sel:WORD_1 src1_sel:DWORD
	v_addc_co_u32_e32 v84, vcc, v25, v79, vcc
	s_waitcnt lgkmcnt(1)
	v_pk_fma_f16 v96, v38, v94, v49
	v_pk_fma_f16 v50, v38, v95, v50
	;; [unrolled: 1-line block ×8, first 2 shown]
	s_waitcnt lgkmcnt(0)
	v_pk_fma_f16 v103, v42, v94, v48
	ds_read2_b64 v[34:37], v33 offset1:32
	ds_read2_b64 v[38:41], v33 offset0:64 offset1:96
	ds_read2_b64 v[46:49], v33 offset0:128 offset1:160
	;; [unrolled: 1-line block ×3, first 2 shown]
	ds_read2_b64 v[63:66], v32 offset1:32
	ds_read2_b64 v[67:70], v32 offset0:64 offset1:96
	ds_read2_b64 v[71:74], v32 offset0:128 offset1:160
	ds_read2_b64 v[75:78], v32 offset0:192 offset1:224
	s_waitcnt lgkmcnt(0)
	s_barrier
	global_load_dwordx4 v[79:82], v[83:84], off
	s_nop 0
	global_load_dwordx4 v[83:86], v[83:84], off offset:512
	v_pk_fma_f16 v42, v42, v95, v87
	v_pk_fma_f16 v87, v43, v94, v88
	;; [unrolled: 1-line block ×7, first 2 shown]
	v_mul_u32_u24_sdwa v90, v1, s26 dst_sel:DWORD dst_unused:UNUSED_PAD src0_sel:WORD_0 src1_sel:DWORD
	v_mul_u32_u24_sdwa v1, v1, s26 dst_sel:DWORD dst_unused:UNUSED_PAD src0_sel:WORD_1 src1_sel:DWORD
	v_pk_fma_f16 v91, v34, v90, v96
	v_pk_fma_f16 v34, v34, v1, v50
	;; [unrolled: 1-line block ×16, first 2 shown]
	v_mul_u32_u24_sdwa v41, v2, s26 dst_sel:DWORD dst_unused:UNUSED_PAD src0_sel:WORD_0 src1_sel:DWORD
	v_mul_u32_u24_sdwa v2, v2, s26 dst_sel:DWORD dst_unused:UNUSED_PAD src0_sel:WORD_1 src1_sel:DWORD
	v_pk_fma_f16 v34, v46, v2, v34
	v_pk_fma_f16 v35, v47, v2, v35
	v_pk_fma_f16 v36, v48, v2, v36
	v_pk_fma_f16 v37, v49, v2, v37
	v_pk_fma_f16 v38, v59, v2, v38
	v_pk_fma_f16 v39, v60, v2, v39
	v_pk_fma_f16 v40, v61, v2, v40
	v_pk_fma_f16 v1, v62, v2, v1
	v_mul_u32_u24_sdwa v2, v3, s26 dst_sel:DWORD dst_unused:UNUSED_PAD src0_sel:WORD_0 src1_sel:DWORD
	v_mul_u32_u24_sdwa v3, v3, s26 dst_sel:DWORD dst_unused:UNUSED_PAD src0_sel:WORD_1 src1_sel:DWORD
	v_pk_fma_f16 v34, v63, v3, v34
	v_pk_fma_f16 v35, v64, v3, v35
	v_pk_fma_f16 v36, v65, v3, v36
	v_pk_fma_f16 v37, v66, v3, v37
	v_pk_fma_f16 v38, v67, v3, v38
	v_pk_fma_f16 v39, v68, v3, v39
	v_pk_fma_f16 v40, v69, v3, v40
	v_pk_fma_f16 v1, v70, v3, v1
	;; [unrolled: 10-line block ×3, first 2 shown]
	v_pk_fma_f16 v50, v71, v4, v34
	v_pk_fma_f16 v60, v72, v4, v35
	;; [unrolled: 1-line block ×4, first 2 shown]
	s_waitcnt vmcnt(1)
	ds_write_b128 v21, v[79:82]
	s_waitcnt vmcnt(0)
	ds_write_b128 v22, v[83:86]
	s_waitcnt lgkmcnt(0)
	s_barrier
	ds_read_b128 v[34:37], v20 offset:96
	v_pk_fma_f16 v44, v63, v2, v45
	v_pk_fma_f16 v45, v64, v2, v46
	;; [unrolled: 1-line block ×20, first 2 shown]
	ds_read2_b64 v[38:41], v23 offset1:32
	ds_read2_b64 v[42:45], v23 offset0:64 offset1:96
	ds_read_b128 v[1:4], v20 offset:112
	s_waitcnt lgkmcnt(3)
	v_mul_u32_u24_sdwa v70, v34, s26 dst_sel:DWORD dst_unused:UNUSED_PAD src0_sel:WORD_0 src1_sel:DWORD
	v_mul_u32_u24_sdwa v34, v34, s26 dst_sel:DWORD dst_unused:UNUSED_PAD src0_sel:WORD_1 src1_sel:DWORD
	s_waitcnt lgkmcnt(2)
	v_pk_fma_f16 v49, v38, v70, v49
	v_pk_fma_f16 v50, v38, v34, v50
	;; [unrolled: 1-line block ×8, first 2 shown]
	s_waitcnt lgkmcnt(1)
	v_pk_fma_f16 v48, v42, v70, v48
	v_pk_fma_f16 v63, v42, v34, v63
	;; [unrolled: 1-line block ×7, first 2 shown]
	ds_read2_b64 v[38:41], v23 offset0:128 offset1:160
	v_pk_fma_f16 v34, v45, v34, v69
	ds_read2_b64 v[42:45], v23 offset0:192 offset1:224
	v_mul_u32_u24_sdwa v69, v35, s26 dst_sel:DWORD dst_unused:UNUSED_PAD src0_sel:WORD_0 src1_sel:DWORD
	v_mul_u32_u24_sdwa v35, v35, s26 dst_sel:DWORD dst_unused:UNUSED_PAD src0_sel:WORD_1 src1_sel:DWORD
	s_waitcnt lgkmcnt(1)
	v_pk_fma_f16 v49, v38, v69, v49
	v_pk_fma_f16 v50, v38, v35, v50
	;; [unrolled: 1-line block ×8, first 2 shown]
	s_waitcnt lgkmcnt(0)
	v_pk_fma_f16 v48, v42, v69, v48
	v_pk_fma_f16 v63, v42, v35, v63
	;; [unrolled: 1-line block ×7, first 2 shown]
	ds_read2_b64 v[38:41], v31 offset1:32
	v_pk_fma_f16 v34, v45, v35, v34
	ds_read2_b64 v[42:45], v31 offset0:64 offset1:96
	v_mul_u32_u24_sdwa v35, v36, s26 dst_sel:DWORD dst_unused:UNUSED_PAD src0_sel:WORD_0 src1_sel:DWORD
	v_mul_u32_u24_sdwa v36, v36, s26 dst_sel:DWORD dst_unused:UNUSED_PAD src0_sel:WORD_1 src1_sel:DWORD
	s_waitcnt lgkmcnt(1)
	v_pk_fma_f16 v49, v38, v35, v49
	v_pk_fma_f16 v50, v38, v36, v50
	;; [unrolled: 1-line block ×8, first 2 shown]
	s_waitcnt lgkmcnt(0)
	v_pk_fma_f16 v48, v42, v35, v48
	v_pk_fma_f16 v87, v42, v36, v63
	;; [unrolled: 1-line block ×7, first 2 shown]
	ds_read2_b64 v[38:41], v31 offset0:128 offset1:160
	v_pk_fma_f16 v93, v45, v36, v34
	ds_read2_b64 v[42:45], v31 offset0:192 offset1:224
	s_or_b32 s8, s6, 32
	s_mul_hi_i32 s9, s8, s15
	s_mul_i32 s8, s8, s15
	s_lshl_b64 s[8:9], s[8:9], 2
	v_mov_b32_e32 v79, s9
	v_add_co_u32_e32 v83, vcc, s8, v24
	v_mul_u32_u24_sdwa v94, v37, s26 dst_sel:DWORD dst_unused:UNUSED_PAD src0_sel:WORD_0 src1_sel:DWORD
	v_mul_u32_u24_sdwa v95, v37, s26 dst_sel:DWORD dst_unused:UNUSED_PAD src0_sel:WORD_1 src1_sel:DWORD
	v_addc_co_u32_e32 v84, vcc, v25, v79, vcc
	s_waitcnt lgkmcnt(1)
	v_pk_fma_f16 v96, v38, v94, v49
	v_pk_fma_f16 v50, v38, v95, v50
	v_pk_fma_f16 v97, v39, v94, v59
	v_pk_fma_f16 v98, v39, v95, v60
	v_pk_fma_f16 v99, v40, v94, v46
	v_pk_fma_f16 v100, v40, v95, v61
	v_pk_fma_f16 v101, v41, v94, v47
	v_pk_fma_f16 v102, v41, v95, v62
	s_waitcnt lgkmcnt(0)
	v_pk_fma_f16 v103, v42, v94, v48
	ds_read2_b64 v[34:37], v33 offset1:32
	ds_read2_b64 v[38:41], v33 offset0:64 offset1:96
	ds_read2_b64 v[46:49], v33 offset0:128 offset1:160
	;; [unrolled: 1-line block ×3, first 2 shown]
	ds_read2_b64 v[63:66], v32 offset1:32
	ds_read2_b64 v[67:70], v32 offset0:64 offset1:96
	ds_read2_b64 v[71:74], v32 offset0:128 offset1:160
	;; [unrolled: 1-line block ×3, first 2 shown]
	s_waitcnt lgkmcnt(0)
	s_barrier
	global_load_dwordx4 v[79:82], v[83:84], off
	s_nop 0
	global_load_dwordx4 v[83:86], v[83:84], off offset:512
	v_pk_fma_f16 v42, v42, v95, v87
	v_pk_fma_f16 v87, v43, v94, v88
	v_pk_fma_f16 v43, v43, v95, v89
	v_pk_fma_f16 v88, v44, v94, v90
	v_pk_fma_f16 v44, v44, v95, v91
	v_pk_fma_f16 v89, v45, v94, v92
	v_pk_fma_f16 v45, v45, v95, v93
	v_mul_u32_u24_sdwa v90, v1, s26 dst_sel:DWORD dst_unused:UNUSED_PAD src0_sel:WORD_0 src1_sel:DWORD
	v_mul_u32_u24_sdwa v1, v1, s26 dst_sel:DWORD dst_unused:UNUSED_PAD src0_sel:WORD_1 src1_sel:DWORD
	v_pk_fma_f16 v91, v34, v90, v96
	v_pk_fma_f16 v34, v34, v1, v50
	;; [unrolled: 1-line block ×16, first 2 shown]
	v_mul_u32_u24_sdwa v41, v2, s26 dst_sel:DWORD dst_unused:UNUSED_PAD src0_sel:WORD_0 src1_sel:DWORD
	v_mul_u32_u24_sdwa v2, v2, s26 dst_sel:DWORD dst_unused:UNUSED_PAD src0_sel:WORD_1 src1_sel:DWORD
	v_pk_fma_f16 v34, v46, v2, v34
	v_pk_fma_f16 v35, v47, v2, v35
	v_pk_fma_f16 v36, v48, v2, v36
	v_pk_fma_f16 v37, v49, v2, v37
	v_pk_fma_f16 v38, v59, v2, v38
	v_pk_fma_f16 v39, v60, v2, v39
	v_pk_fma_f16 v40, v61, v2, v40
	v_pk_fma_f16 v1, v62, v2, v1
	v_mul_u32_u24_sdwa v2, v3, s26 dst_sel:DWORD dst_unused:UNUSED_PAD src0_sel:WORD_0 src1_sel:DWORD
	v_mul_u32_u24_sdwa v3, v3, s26 dst_sel:DWORD dst_unused:UNUSED_PAD src0_sel:WORD_1 src1_sel:DWORD
	v_pk_fma_f16 v34, v63, v3, v34
	v_pk_fma_f16 v35, v64, v3, v35
	v_pk_fma_f16 v36, v65, v3, v36
	v_pk_fma_f16 v37, v66, v3, v37
	v_pk_fma_f16 v38, v67, v3, v38
	v_pk_fma_f16 v39, v68, v3, v39
	v_pk_fma_f16 v40, v69, v3, v40
	v_pk_fma_f16 v1, v70, v3, v1
	;; [unrolled: 10-line block ×3, first 2 shown]
	v_pk_fma_f16 v50, v71, v4, v34
	v_pk_fma_f16 v60, v72, v4, v35
	;; [unrolled: 1-line block ×4, first 2 shown]
	s_waitcnt vmcnt(1)
	ds_write_b128 v21, v[79:82]
	s_waitcnt vmcnt(0)
	ds_write_b128 v22, v[83:86]
	s_waitcnt lgkmcnt(0)
	s_barrier
	ds_read_b128 v[34:37], v20 offset:128
	v_pk_fma_f16 v44, v63, v2, v45
	v_pk_fma_f16 v45, v64, v2, v46
	;; [unrolled: 1-line block ×20, first 2 shown]
	ds_read2_b64 v[38:41], v23 offset1:32
	ds_read2_b64 v[42:45], v23 offset0:64 offset1:96
	ds_read_b128 v[1:4], v20 offset:144
	s_waitcnt lgkmcnt(3)
	v_mul_u32_u24_sdwa v70, v34, s26 dst_sel:DWORD dst_unused:UNUSED_PAD src0_sel:WORD_0 src1_sel:DWORD
	v_mul_u32_u24_sdwa v34, v34, s26 dst_sel:DWORD dst_unused:UNUSED_PAD src0_sel:WORD_1 src1_sel:DWORD
	s_waitcnt lgkmcnt(2)
	v_pk_fma_f16 v49, v38, v70, v49
	v_pk_fma_f16 v50, v38, v34, v50
	;; [unrolled: 1-line block ×8, first 2 shown]
	s_waitcnt lgkmcnt(1)
	v_pk_fma_f16 v48, v42, v70, v48
	v_pk_fma_f16 v63, v42, v34, v63
	;; [unrolled: 1-line block ×7, first 2 shown]
	ds_read2_b64 v[38:41], v23 offset0:128 offset1:160
	v_pk_fma_f16 v34, v45, v34, v69
	ds_read2_b64 v[42:45], v23 offset0:192 offset1:224
	v_mul_u32_u24_sdwa v69, v35, s26 dst_sel:DWORD dst_unused:UNUSED_PAD src0_sel:WORD_0 src1_sel:DWORD
	v_mul_u32_u24_sdwa v35, v35, s26 dst_sel:DWORD dst_unused:UNUSED_PAD src0_sel:WORD_1 src1_sel:DWORD
	s_waitcnt lgkmcnt(1)
	v_pk_fma_f16 v49, v38, v69, v49
	v_pk_fma_f16 v50, v38, v35, v50
	;; [unrolled: 1-line block ×8, first 2 shown]
	s_waitcnt lgkmcnt(0)
	v_pk_fma_f16 v48, v42, v69, v48
	v_pk_fma_f16 v63, v42, v35, v63
	;; [unrolled: 1-line block ×7, first 2 shown]
	ds_read2_b64 v[38:41], v31 offset1:32
	v_pk_fma_f16 v34, v45, v35, v34
	ds_read2_b64 v[42:45], v31 offset0:64 offset1:96
	v_mul_u32_u24_sdwa v35, v36, s26 dst_sel:DWORD dst_unused:UNUSED_PAD src0_sel:WORD_0 src1_sel:DWORD
	v_mul_u32_u24_sdwa v36, v36, s26 dst_sel:DWORD dst_unused:UNUSED_PAD src0_sel:WORD_1 src1_sel:DWORD
	s_waitcnt lgkmcnt(1)
	v_pk_fma_f16 v49, v38, v35, v49
	v_pk_fma_f16 v50, v38, v36, v50
	;; [unrolled: 1-line block ×8, first 2 shown]
	s_waitcnt lgkmcnt(0)
	v_pk_fma_f16 v48, v42, v35, v48
	v_pk_fma_f16 v87, v42, v36, v63
	v_pk_fma_f16 v88, v43, v35, v64
	v_pk_fma_f16 v89, v43, v36, v65
	v_pk_fma_f16 v90, v44, v35, v66
	v_pk_fma_f16 v91, v44, v36, v67
	v_pk_fma_f16 v92, v45, v35, v68
	ds_read2_b64 v[38:41], v31 offset0:128 offset1:160
	v_pk_fma_f16 v93, v45, v36, v34
	ds_read2_b64 v[42:45], v31 offset0:192 offset1:224
	s_or_b32 s8, s6, 40
	s_mul_hi_i32 s9, s8, s15
	s_mul_i32 s8, s8, s15
	s_lshl_b64 s[8:9], s[8:9], 2
	v_mov_b32_e32 v79, s9
	v_add_co_u32_e32 v83, vcc, s8, v24
	v_mul_u32_u24_sdwa v94, v37, s26 dst_sel:DWORD dst_unused:UNUSED_PAD src0_sel:WORD_0 src1_sel:DWORD
	v_mul_u32_u24_sdwa v95, v37, s26 dst_sel:DWORD dst_unused:UNUSED_PAD src0_sel:WORD_1 src1_sel:DWORD
	v_addc_co_u32_e32 v84, vcc, v25, v79, vcc
	s_waitcnt lgkmcnt(1)
	v_pk_fma_f16 v96, v38, v94, v49
	v_pk_fma_f16 v50, v38, v95, v50
	;; [unrolled: 1-line block ×8, first 2 shown]
	s_waitcnt lgkmcnt(0)
	v_pk_fma_f16 v103, v42, v94, v48
	ds_read2_b64 v[34:37], v33 offset1:32
	ds_read2_b64 v[38:41], v33 offset0:64 offset1:96
	ds_read2_b64 v[46:49], v33 offset0:128 offset1:160
	;; [unrolled: 1-line block ×3, first 2 shown]
	ds_read2_b64 v[63:66], v32 offset1:32
	ds_read2_b64 v[67:70], v32 offset0:64 offset1:96
	ds_read2_b64 v[71:74], v32 offset0:128 offset1:160
	ds_read2_b64 v[75:78], v32 offset0:192 offset1:224
	s_waitcnt lgkmcnt(0)
	s_barrier
	global_load_dwordx4 v[79:82], v[83:84], off
	s_nop 0
	global_load_dwordx4 v[83:86], v[83:84], off offset:512
	v_pk_fma_f16 v42, v42, v95, v87
	v_pk_fma_f16 v87, v43, v94, v88
	;; [unrolled: 1-line block ×7, first 2 shown]
	v_mul_u32_u24_sdwa v90, v1, s26 dst_sel:DWORD dst_unused:UNUSED_PAD src0_sel:WORD_0 src1_sel:DWORD
	v_mul_u32_u24_sdwa v1, v1, s26 dst_sel:DWORD dst_unused:UNUSED_PAD src0_sel:WORD_1 src1_sel:DWORD
	v_pk_fma_f16 v91, v34, v90, v96
	v_pk_fma_f16 v34, v34, v1, v50
	;; [unrolled: 1-line block ×16, first 2 shown]
	v_mul_u32_u24_sdwa v41, v2, s26 dst_sel:DWORD dst_unused:UNUSED_PAD src0_sel:WORD_0 src1_sel:DWORD
	v_mul_u32_u24_sdwa v2, v2, s26 dst_sel:DWORD dst_unused:UNUSED_PAD src0_sel:WORD_1 src1_sel:DWORD
	v_pk_fma_f16 v34, v46, v2, v34
	v_pk_fma_f16 v35, v47, v2, v35
	v_pk_fma_f16 v36, v48, v2, v36
	v_pk_fma_f16 v37, v49, v2, v37
	v_pk_fma_f16 v38, v59, v2, v38
	v_pk_fma_f16 v39, v60, v2, v39
	v_pk_fma_f16 v40, v61, v2, v40
	v_pk_fma_f16 v1, v62, v2, v1
	v_mul_u32_u24_sdwa v2, v3, s26 dst_sel:DWORD dst_unused:UNUSED_PAD src0_sel:WORD_0 src1_sel:DWORD
	v_mul_u32_u24_sdwa v3, v3, s26 dst_sel:DWORD dst_unused:UNUSED_PAD src0_sel:WORD_1 src1_sel:DWORD
	v_pk_fma_f16 v34, v63, v3, v34
	v_pk_fma_f16 v35, v64, v3, v35
	v_pk_fma_f16 v36, v65, v3, v36
	v_pk_fma_f16 v37, v66, v3, v37
	v_pk_fma_f16 v38, v67, v3, v38
	v_pk_fma_f16 v39, v68, v3, v39
	v_pk_fma_f16 v40, v69, v3, v40
	v_pk_fma_f16 v1, v70, v3, v1
	;; [unrolled: 10-line block ×3, first 2 shown]
	v_pk_fma_f16 v50, v71, v4, v34
	v_pk_fma_f16 v60, v72, v4, v35
	;; [unrolled: 1-line block ×4, first 2 shown]
	s_waitcnt vmcnt(1)
	ds_write_b128 v21, v[79:82]
	s_waitcnt vmcnt(0)
	ds_write_b128 v22, v[83:86]
	s_waitcnt lgkmcnt(0)
	s_barrier
	ds_read_b128 v[34:37], v20 offset:160
	v_pk_fma_f16 v44, v63, v2, v45
	v_pk_fma_f16 v45, v64, v2, v46
	;; [unrolled: 1-line block ×20, first 2 shown]
	ds_read2_b64 v[38:41], v23 offset1:32
	ds_read2_b64 v[42:45], v23 offset0:64 offset1:96
	ds_read_b128 v[1:4], v20 offset:176
	s_waitcnt lgkmcnt(3)
	v_mul_u32_u24_sdwa v70, v34, s26 dst_sel:DWORD dst_unused:UNUSED_PAD src0_sel:WORD_0 src1_sel:DWORD
	v_mul_u32_u24_sdwa v34, v34, s26 dst_sel:DWORD dst_unused:UNUSED_PAD src0_sel:WORD_1 src1_sel:DWORD
	s_waitcnt lgkmcnt(2)
	v_pk_fma_f16 v49, v38, v70, v49
	v_pk_fma_f16 v50, v38, v34, v50
	;; [unrolled: 1-line block ×8, first 2 shown]
	s_waitcnt lgkmcnt(1)
	v_pk_fma_f16 v48, v42, v70, v48
	v_pk_fma_f16 v63, v42, v34, v63
	;; [unrolled: 1-line block ×7, first 2 shown]
	ds_read2_b64 v[38:41], v23 offset0:128 offset1:160
	v_pk_fma_f16 v34, v45, v34, v69
	ds_read2_b64 v[42:45], v23 offset0:192 offset1:224
	v_mul_u32_u24_sdwa v69, v35, s26 dst_sel:DWORD dst_unused:UNUSED_PAD src0_sel:WORD_0 src1_sel:DWORD
	v_mul_u32_u24_sdwa v35, v35, s26 dst_sel:DWORD dst_unused:UNUSED_PAD src0_sel:WORD_1 src1_sel:DWORD
	s_waitcnt lgkmcnt(1)
	v_pk_fma_f16 v49, v38, v69, v49
	v_pk_fma_f16 v50, v38, v35, v50
	;; [unrolled: 1-line block ×8, first 2 shown]
	s_waitcnt lgkmcnt(0)
	v_pk_fma_f16 v48, v42, v69, v48
	v_pk_fma_f16 v63, v42, v35, v63
	;; [unrolled: 1-line block ×7, first 2 shown]
	ds_read2_b64 v[38:41], v31 offset1:32
	v_pk_fma_f16 v34, v45, v35, v34
	ds_read2_b64 v[42:45], v31 offset0:64 offset1:96
	v_mul_u32_u24_sdwa v35, v36, s26 dst_sel:DWORD dst_unused:UNUSED_PAD src0_sel:WORD_0 src1_sel:DWORD
	v_mul_u32_u24_sdwa v36, v36, s26 dst_sel:DWORD dst_unused:UNUSED_PAD src0_sel:WORD_1 src1_sel:DWORD
	s_waitcnt lgkmcnt(1)
	v_pk_fma_f16 v49, v38, v35, v49
	v_pk_fma_f16 v50, v38, v36, v50
	;; [unrolled: 1-line block ×8, first 2 shown]
	s_waitcnt lgkmcnt(0)
	v_pk_fma_f16 v48, v42, v35, v48
	v_pk_fma_f16 v87, v42, v36, v63
	;; [unrolled: 1-line block ×7, first 2 shown]
	ds_read2_b64 v[38:41], v31 offset0:128 offset1:160
	v_pk_fma_f16 v93, v45, v36, v34
	ds_read2_b64 v[42:45], v31 offset0:192 offset1:224
	s_or_b32 s8, s6, 48
	s_mul_hi_i32 s9, s8, s15
	s_mul_i32 s8, s8, s15
	s_lshl_b64 s[8:9], s[8:9], 2
	v_mov_b32_e32 v79, s9
	v_add_co_u32_e32 v83, vcc, s8, v24
	v_mul_u32_u24_sdwa v94, v37, s26 dst_sel:DWORD dst_unused:UNUSED_PAD src0_sel:WORD_0 src1_sel:DWORD
	v_mul_u32_u24_sdwa v95, v37, s26 dst_sel:DWORD dst_unused:UNUSED_PAD src0_sel:WORD_1 src1_sel:DWORD
	v_addc_co_u32_e32 v84, vcc, v25, v79, vcc
	s_waitcnt lgkmcnt(1)
	v_pk_fma_f16 v96, v38, v94, v49
	v_pk_fma_f16 v50, v38, v95, v50
	;; [unrolled: 1-line block ×8, first 2 shown]
	s_waitcnt lgkmcnt(0)
	v_pk_fma_f16 v103, v42, v94, v48
	ds_read2_b64 v[34:37], v33 offset1:32
	ds_read2_b64 v[38:41], v33 offset0:64 offset1:96
	ds_read2_b64 v[46:49], v33 offset0:128 offset1:160
	;; [unrolled: 1-line block ×3, first 2 shown]
	ds_read2_b64 v[63:66], v32 offset1:32
	ds_read2_b64 v[67:70], v32 offset0:64 offset1:96
	ds_read2_b64 v[71:74], v32 offset0:128 offset1:160
	;; [unrolled: 1-line block ×3, first 2 shown]
	s_waitcnt lgkmcnt(0)
	s_barrier
	global_load_dwordx4 v[79:82], v[83:84], off
	s_nop 0
	global_load_dwordx4 v[83:86], v[83:84], off offset:512
	v_pk_fma_f16 v42, v42, v95, v87
	v_pk_fma_f16 v87, v43, v94, v88
	;; [unrolled: 1-line block ×7, first 2 shown]
	v_mul_u32_u24_sdwa v90, v1, s26 dst_sel:DWORD dst_unused:UNUSED_PAD src0_sel:WORD_0 src1_sel:DWORD
	v_mul_u32_u24_sdwa v1, v1, s26 dst_sel:DWORD dst_unused:UNUSED_PAD src0_sel:WORD_1 src1_sel:DWORD
	v_pk_fma_f16 v91, v34, v90, v96
	v_pk_fma_f16 v34, v34, v1, v50
	;; [unrolled: 1-line block ×16, first 2 shown]
	v_mul_u32_u24_sdwa v41, v2, s26 dst_sel:DWORD dst_unused:UNUSED_PAD src0_sel:WORD_0 src1_sel:DWORD
	v_mul_u32_u24_sdwa v2, v2, s26 dst_sel:DWORD dst_unused:UNUSED_PAD src0_sel:WORD_1 src1_sel:DWORD
	v_pk_fma_f16 v34, v46, v2, v34
	v_pk_fma_f16 v35, v47, v2, v35
	v_pk_fma_f16 v36, v48, v2, v36
	v_pk_fma_f16 v37, v49, v2, v37
	v_pk_fma_f16 v38, v59, v2, v38
	v_pk_fma_f16 v39, v60, v2, v39
	v_pk_fma_f16 v40, v61, v2, v40
	v_pk_fma_f16 v1, v62, v2, v1
	v_mul_u32_u24_sdwa v2, v3, s26 dst_sel:DWORD dst_unused:UNUSED_PAD src0_sel:WORD_0 src1_sel:DWORD
	v_mul_u32_u24_sdwa v3, v3, s26 dst_sel:DWORD dst_unused:UNUSED_PAD src0_sel:WORD_1 src1_sel:DWORD
	v_pk_fma_f16 v34, v63, v3, v34
	v_pk_fma_f16 v35, v64, v3, v35
	v_pk_fma_f16 v36, v65, v3, v36
	v_pk_fma_f16 v37, v66, v3, v37
	v_pk_fma_f16 v38, v67, v3, v38
	v_pk_fma_f16 v39, v68, v3, v39
	v_pk_fma_f16 v40, v69, v3, v40
	v_pk_fma_f16 v1, v70, v3, v1
	;; [unrolled: 10-line block ×3, first 2 shown]
	v_pk_fma_f16 v50, v71, v4, v34
	v_pk_fma_f16 v60, v72, v4, v35
	;; [unrolled: 1-line block ×4, first 2 shown]
	s_waitcnt vmcnt(1)
	ds_write_b128 v21, v[79:82]
	s_waitcnt vmcnt(0)
	ds_write_b128 v22, v[83:86]
	s_waitcnt lgkmcnt(0)
	s_barrier
	ds_read_b128 v[34:37], v20 offset:192
	v_pk_fma_f16 v44, v63, v2, v45
	v_pk_fma_f16 v45, v64, v2, v46
	;; [unrolled: 1-line block ×20, first 2 shown]
	ds_read2_b64 v[38:41], v23 offset1:32
	ds_read2_b64 v[42:45], v23 offset0:64 offset1:96
	ds_read_b128 v[1:4], v20 offset:208
	s_waitcnt lgkmcnt(3)
	v_mul_u32_u24_sdwa v70, v34, s26 dst_sel:DWORD dst_unused:UNUSED_PAD src0_sel:WORD_0 src1_sel:DWORD
	v_mul_u32_u24_sdwa v34, v34, s26 dst_sel:DWORD dst_unused:UNUSED_PAD src0_sel:WORD_1 src1_sel:DWORD
	s_waitcnt lgkmcnt(2)
	v_pk_fma_f16 v49, v38, v70, v49
	v_pk_fma_f16 v50, v38, v34, v50
	;; [unrolled: 1-line block ×8, first 2 shown]
	s_waitcnt lgkmcnt(1)
	v_pk_fma_f16 v48, v42, v70, v48
	v_pk_fma_f16 v63, v42, v34, v63
	v_pk_fma_f16 v64, v43, v70, v64
	v_pk_fma_f16 v65, v43, v34, v65
	v_pk_fma_f16 v66, v44, v70, v66
	v_pk_fma_f16 v67, v44, v34, v67
	v_pk_fma_f16 v68, v45, v70, v68
	ds_read2_b64 v[38:41], v23 offset0:128 offset1:160
	v_pk_fma_f16 v34, v45, v34, v69
	ds_read2_b64 v[42:45], v23 offset0:192 offset1:224
	v_mul_u32_u24_sdwa v69, v35, s26 dst_sel:DWORD dst_unused:UNUSED_PAD src0_sel:WORD_0 src1_sel:DWORD
	v_mul_u32_u24_sdwa v35, v35, s26 dst_sel:DWORD dst_unused:UNUSED_PAD src0_sel:WORD_1 src1_sel:DWORD
	s_waitcnt lgkmcnt(1)
	v_pk_fma_f16 v49, v38, v69, v49
	v_pk_fma_f16 v50, v38, v35, v50
	;; [unrolled: 1-line block ×8, first 2 shown]
	s_waitcnt lgkmcnt(0)
	v_pk_fma_f16 v48, v42, v69, v48
	v_pk_fma_f16 v63, v42, v35, v63
	;; [unrolled: 1-line block ×7, first 2 shown]
	ds_read2_b64 v[38:41], v31 offset1:32
	v_pk_fma_f16 v34, v45, v35, v34
	ds_read2_b64 v[42:45], v31 offset0:64 offset1:96
	v_mul_u32_u24_sdwa v35, v36, s26 dst_sel:DWORD dst_unused:UNUSED_PAD src0_sel:WORD_0 src1_sel:DWORD
	v_mul_u32_u24_sdwa v36, v36, s26 dst_sel:DWORD dst_unused:UNUSED_PAD src0_sel:WORD_1 src1_sel:DWORD
	s_waitcnt lgkmcnt(1)
	v_pk_fma_f16 v49, v38, v35, v49
	v_pk_fma_f16 v50, v38, v36, v50
	;; [unrolled: 1-line block ×8, first 2 shown]
	s_waitcnt lgkmcnt(0)
	v_pk_fma_f16 v48, v42, v35, v48
	v_pk_fma_f16 v87, v42, v36, v63
	;; [unrolled: 1-line block ×7, first 2 shown]
	ds_read2_b64 v[38:41], v31 offset0:128 offset1:160
	v_pk_fma_f16 v93, v45, v36, v34
	ds_read2_b64 v[42:45], v31 offset0:192 offset1:224
	s_or_b32 s8, s6, 56
	s_mul_hi_i32 s9, s8, s15
	s_mul_i32 s8, s8, s15
	s_lshl_b64 s[8:9], s[8:9], 2
	v_mov_b32_e32 v79, s9
	v_add_co_u32_e32 v83, vcc, s8, v24
	v_mul_u32_u24_sdwa v94, v37, s26 dst_sel:DWORD dst_unused:UNUSED_PAD src0_sel:WORD_0 src1_sel:DWORD
	v_mul_u32_u24_sdwa v95, v37, s26 dst_sel:DWORD dst_unused:UNUSED_PAD src0_sel:WORD_1 src1_sel:DWORD
	v_addc_co_u32_e32 v84, vcc, v25, v79, vcc
	s_waitcnt lgkmcnt(1)
	v_pk_fma_f16 v96, v38, v94, v49
	v_pk_fma_f16 v50, v38, v95, v50
	;; [unrolled: 1-line block ×8, first 2 shown]
	s_waitcnt lgkmcnt(0)
	v_pk_fma_f16 v103, v42, v94, v48
	ds_read2_b64 v[34:37], v33 offset1:32
	ds_read2_b64 v[38:41], v33 offset0:64 offset1:96
	ds_read2_b64 v[46:49], v33 offset0:128 offset1:160
	;; [unrolled: 1-line block ×3, first 2 shown]
	ds_read2_b64 v[63:66], v32 offset1:32
	ds_read2_b64 v[67:70], v32 offset0:64 offset1:96
	ds_read2_b64 v[71:74], v32 offset0:128 offset1:160
	;; [unrolled: 1-line block ×3, first 2 shown]
	s_waitcnt lgkmcnt(0)
	s_barrier
	global_load_dwordx4 v[79:82], v[83:84], off
	s_nop 0
	global_load_dwordx4 v[83:86], v[83:84], off offset:512
	v_pk_fma_f16 v42, v42, v95, v87
	v_pk_fma_f16 v87, v43, v94, v88
	v_pk_fma_f16 v43, v43, v95, v89
	v_pk_fma_f16 v88, v44, v94, v90
	v_pk_fma_f16 v44, v44, v95, v91
	v_pk_fma_f16 v89, v45, v94, v92
	v_pk_fma_f16 v45, v45, v95, v93
	v_mul_u32_u24_sdwa v90, v1, s26 dst_sel:DWORD dst_unused:UNUSED_PAD src0_sel:WORD_0 src1_sel:DWORD
	v_mul_u32_u24_sdwa v1, v1, s26 dst_sel:DWORD dst_unused:UNUSED_PAD src0_sel:WORD_1 src1_sel:DWORD
	v_pk_fma_f16 v91, v34, v90, v96
	v_pk_fma_f16 v34, v34, v1, v50
	v_pk_fma_f16 v50, v35, v90, v97
	v_pk_fma_f16 v35, v35, v1, v98
	v_pk_fma_f16 v92, v36, v90, v99
	v_pk_fma_f16 v36, v36, v1, v100
	v_pk_fma_f16 v93, v37, v90, v101
	v_pk_fma_f16 v37, v37, v1, v102
	v_pk_fma_f16 v94, v38, v90, v103
	v_pk_fma_f16 v38, v38, v1, v42
	v_pk_fma_f16 v42, v39, v90, v87
	v_pk_fma_f16 v39, v39, v1, v43
	v_pk_fma_f16 v43, v40, v90, v88
	v_pk_fma_f16 v40, v40, v1, v44
	v_pk_fma_f16 v44, v41, v90, v89
	v_pk_fma_f16 v1, v41, v1, v45
	v_mul_u32_u24_sdwa v41, v2, s26 dst_sel:DWORD dst_unused:UNUSED_PAD src0_sel:WORD_0 src1_sel:DWORD
	v_mul_u32_u24_sdwa v2, v2, s26 dst_sel:DWORD dst_unused:UNUSED_PAD src0_sel:WORD_1 src1_sel:DWORD
	v_pk_fma_f16 v45, v46, v41, v91
	v_pk_fma_f16 v34, v46, v2, v34
	v_pk_fma_f16 v46, v47, v41, v50
	v_pk_fma_f16 v35, v47, v2, v35
	v_pk_fma_f16 v47, v48, v41, v92
	v_pk_fma_f16 v36, v48, v2, v36
	v_pk_fma_f16 v48, v49, v41, v93
	v_pk_fma_f16 v37, v49, v2, v37
	v_pk_fma_f16 v49, v59, v41, v94
	;; [unrolled: 18-line block ×3, first 2 shown]
	v_mul_u32_u24_sdwa v1, v4, s26 dst_sel:DWORD dst_unused:UNUSED_PAD src0_sel:WORD_0 src1_sel:DWORD
	v_pk_fma_f16 v34, v63, v3, v34
	v_pk_fma_f16 v35, v64, v3, v35
	;; [unrolled: 1-line block ×7, first 2 shown]
	v_mul_u32_u24_sdwa v49, v4, s26 dst_sel:DWORD dst_unused:UNUSED_PAD src0_sel:WORD_1 src1_sel:DWORD
	v_pk_fma_f16 v50, v71, v1, v44
	v_pk_fma_f16 v60, v72, v1, v45
	;; [unrolled: 1-line block ×8, first 2 shown]
	s_waitcnt vmcnt(1)
	ds_write_b128 v21, v[79:82]
	s_waitcnt vmcnt(0)
	ds_write_b128 v22, v[83:86]
	s_waitcnt lgkmcnt(0)
	s_barrier
	ds_read_b128 v[1:4], v20 offset:224
	v_pk_fma_f16 v59, v71, v49, v34
	v_pk_fma_f16 v61, v72, v49, v35
	;; [unrolled: 1-line block ×8, first 2 shown]
	ds_read2_b64 v[34:37], v23 offset1:32
	ds_read2_b64 v[38:41], v23 offset0:64 offset1:96
	ds_read_b128 v[42:45], v20 offset:240
	s_waitcnt lgkmcnt(3)
	v_mul_u32_u24_sdwa v70, v1, s26 dst_sel:DWORD dst_unused:UNUSED_PAD src0_sel:WORD_0 src1_sel:DWORD
	v_mul_u32_u24_sdwa v1, v1, s26 dst_sel:DWORD dst_unused:UNUSED_PAD src0_sel:WORD_1 src1_sel:DWORD
	s_waitcnt lgkmcnt(2)
	v_pk_fma_f16 v50, v34, v70, v50
	v_pk_fma_f16 v59, v34, v1, v59
	;; [unrolled: 1-line block ×8, first 2 shown]
	s_waitcnt lgkmcnt(1)
	v_pk_fma_f16 v48, v38, v70, v48
	v_pk_fma_f16 v64, v38, v1, v64
	;; [unrolled: 1-line block ×7, first 2 shown]
	ds_read2_b64 v[34:37], v23 offset0:128 offset1:160
	v_pk_fma_f16 v1, v41, v1, v49
	ds_read2_b64 v[38:41], v23 offset0:192 offset1:224
	v_mul_u32_u24_sdwa v49, v2, s26 dst_sel:DWORD dst_unused:UNUSED_PAD src0_sel:WORD_0 src1_sel:DWORD
	v_mul_u32_u24_sdwa v2, v2, s26 dst_sel:DWORD dst_unused:UNUSED_PAD src0_sel:WORD_1 src1_sel:DWORD
	s_waitcnt lgkmcnt(1)
	v_pk_fma_f16 v50, v34, v49, v50
	v_pk_fma_f16 v59, v34, v2, v59
	;; [unrolled: 1-line block ×8, first 2 shown]
	s_waitcnt lgkmcnt(0)
	v_pk_fma_f16 v48, v38, v49, v48
	v_pk_fma_f16 v64, v38, v2, v64
	;; [unrolled: 1-line block ×7, first 2 shown]
	ds_read2_b64 v[34:37], v31 offset1:32
	v_pk_fma_f16 v1, v41, v2, v1
	ds_read2_b64 v[38:41], v31 offset0:64 offset1:96
	v_mul_u32_u24_sdwa v2, v3, s26 dst_sel:DWORD dst_unused:UNUSED_PAD src0_sel:WORD_0 src1_sel:DWORD
	v_mul_u32_u24_sdwa v3, v3, s26 dst_sel:DWORD dst_unused:UNUSED_PAD src0_sel:WORD_1 src1_sel:DWORD
	s_waitcnt lgkmcnt(1)
	v_pk_fma_f16 v50, v34, v2, v50
	v_pk_fma_f16 v59, v34, v3, v59
	;; [unrolled: 1-line block ×8, first 2 shown]
	s_waitcnt lgkmcnt(0)
	v_pk_fma_f16 v48, v38, v2, v48
	v_pk_fma_f16 v64, v38, v3, v64
	;; [unrolled: 1-line block ×7, first 2 shown]
	ds_read2_b64 v[34:37], v31 offset0:128 offset1:160
	v_pk_fma_f16 v49, v41, v3, v1
	ds_read2_b64 v[38:41], v31 offset0:192 offset1:224
	v_mul_u32_u24_sdwa v1, v4, s26 dst_sel:DWORD dst_unused:UNUSED_PAD src0_sel:WORD_0 src1_sel:DWORD
	v_mul_u32_u24_sdwa v31, v4, s26 dst_sel:DWORD dst_unused:UNUSED_PAD src0_sel:WORD_1 src1_sel:DWORD
	s_waitcnt lgkmcnt(1)
	v_pk_fma_f16 v50, v34, v1, v50
	v_pk_fma_f16 v59, v34, v31, v59
	;; [unrolled: 1-line block ×8, first 2 shown]
	s_waitcnt lgkmcnt(0)
	v_pk_fma_f16 v48, v38, v1, v48
	v_pk_fma_f16 v38, v38, v31, v64
	;; [unrolled: 1-line block ×6, first 2 shown]
	ds_read2_b64 v[1:4], v33 offset1:32
	ds_read2_b64 v[34:37], v33 offset0:64 offset1:96
	v_pk_fma_f16 v40, v40, v31, v68
	v_pk_fma_f16 v31, v41, v31, v49
	v_mul_u32_u24_sdwa v41, v42, s26 dst_sel:DWORD dst_unused:UNUSED_PAD src0_sel:WORD_0 src1_sel:DWORD
	v_mul_u32_u24_sdwa v42, v42, s26 dst_sel:DWORD dst_unused:UNUSED_PAD src0_sel:WORD_1 src1_sel:DWORD
	s_waitcnt lgkmcnt(1)
	v_pk_fma_f16 v49, v1, v41, v50
	v_pk_fma_f16 v50, v1, v42, v59
	;; [unrolled: 1-line block ×8, first 2 shown]
	s_waitcnt lgkmcnt(0)
	v_pk_fma_f16 v48, v34, v41, v48
	v_pk_fma_f16 v38, v34, v42, v38
	;; [unrolled: 1-line block ×6, first 2 shown]
	ds_read2_b64 v[1:4], v33 offset0:128 offset1:160
	ds_read2_b64 v[33:36], v33 offset0:192 offset1:224
	v_pk_fma_f16 v41, v37, v41, v66
	v_pk_fma_f16 v31, v37, v42, v31
	v_mul_u32_u24_sdwa v37, v43, s26 dst_sel:DWORD dst_unused:UNUSED_PAD src0_sel:WORD_0 src1_sel:DWORD
	v_mul_u32_u24_sdwa v42, v43, s26 dst_sel:DWORD dst_unused:UNUSED_PAD src0_sel:WORD_1 src1_sel:DWORD
	s_waitcnt lgkmcnt(1)
	v_pk_fma_f16 v43, v1, v37, v49
	v_pk_fma_f16 v49, v1, v42, v50
	;; [unrolled: 1-line block ×8, first 2 shown]
	s_waitcnt lgkmcnt(0)
	v_pk_fma_f16 v48, v33, v37, v48
	v_pk_fma_f16 v38, v33, v42, v38
	;; [unrolled: 1-line block ×7, first 2 shown]
	ds_read2_b64 v[1:4], v32 offset1:32
	v_pk_fma_f16 v31, v36, v42, v31
	ds_read2_b64 v[33:36], v32 offset0:64 offset1:96
	v_mul_u32_u24_sdwa v41, v44, s26 dst_sel:DWORD dst_unused:UNUSED_PAD src0_sel:WORD_0 src1_sel:DWORD
	v_mul_u32_u24_sdwa v42, v44, s26 dst_sel:DWORD dst_unused:UNUSED_PAD src0_sel:WORD_1 src1_sel:DWORD
	s_waitcnt lgkmcnt(1)
	v_pk_fma_f16 v43, v1, v41, v43
	v_pk_fma_f16 v44, v1, v42, v49
	;; [unrolled: 1-line block ×8, first 2 shown]
	s_waitcnt lgkmcnt(0)
	v_pk_fma_f16 v67, v33, v41, v48
	ds_read2_b64 v[1:4], v32 offset0:128 offset1:160
	ds_read2_b64 v[47:50], v32 offset0:192 offset1:224
	s_waitcnt lgkmcnt(0)
	s_barrier
	s_load_dword s8, s[0:1], 0x4
	v_pk_fma_f16 v33, v33, v42, v38
	v_pk_fma_f16 v62, v34, v41, v62
	;; [unrolled: 1-line block ×4, first 2 shown]
	s_waitcnt lgkmcnt(0)
	s_lshl_b32 s8, s8, 6
	v_pk_fma_f16 v68, v35, v42, v40
	v_pk_fma_f16 v41, v36, v41, v37
	;; [unrolled: 1-line block ×3, first 2 shown]
	v_mul_u32_u24_sdwa v69, v45, s26 dst_sel:DWORD dst_unused:UNUSED_PAD src0_sel:WORD_0 src1_sel:DWORD
	v_mul_u32_u24_sdwa v70, v45, s26 dst_sel:DWORD dst_unused:UNUSED_PAD src0_sel:WORD_1 src1_sel:DWORD
	s_add_i32 s6, s8, s6
	v_pk_fma_f16 v39, v1, v69, v43
	v_pk_fma_f16 v35, v1, v70, v44
	;; [unrolled: 1-line block ×15, first 2 shown]
	s_cmp_ge_i32 s6, s28
	v_pk_fma_f16 v31, v50, v70, v31
	s_cbranch_scc1 .LBB26_11
; %bb.33:                               ;   in Loop: Header=BB26_16 Depth=1
	v_mov_b32_e32 v50, v10
	v_mov_b32_e32 v48, v11
	;; [unrolled: 1-line block ×4, first 2 shown]
	s_branch .LBB26_16
.LBB26_34:
	v_mov_b32_e32 v4, v2
	v_mov_b32_e32 v3, v1
	v_cmp_gt_i32_e32 vcc, s2, v12
	s_and_saveexec_b64 s[0:1], vcc
	s_cbranch_execz .LBB26_13
.LBB26_35:
	s_load_dword s6, s[4:5], 0xd4
	v_mov_b32_e32 v5, 1.0
	s_waitcnt lgkmcnt(0)
	s_cmp_lg_u32 s6, 1
	s_cselect_b64 s[0:1], -1, 0
	s_cmp_eq_u32 s6, 1
	s_cselect_b64 s[4:5], -1, 0
	s_and_b64 vcc, exec, s[0:1]
	s_cbranch_vccnz .LBB26_37
; %bb.36:
	v_div_scale_f32 v5, s[8:9], v1, v1, 1.0
	v_div_scale_f32 v6, vcc, 1.0, v1, 1.0
	v_rcp_f32_e32 v7, v5
	v_fma_f32 v8, -v5, v7, 1.0
	v_fmac_f32_e32 v7, v8, v7
	v_mul_f32_e32 v8, v6, v7
	v_fma_f32 v9, -v5, v8, v6
	v_fmac_f32_e32 v8, v9, v7
	v_fma_f32 v5, -v5, v8, v6
	v_div_fmas_f32 v5, v5, v7, v8
	v_div_fixup_f32 v5, v5, v1, 1.0
.LBB26_37:
	s_mul_i32 s33, s33, s2
	v_add_u32_e32 v1, s33, v12
	v_mul_lo_u32 v1, v1, s3
	v_cmp_eq_u32_e32 vcc, 0, v0
	v_cvt_f32_f16_sdwa v6, v46 dst_sel:DWORD dst_unused:UNUSED_PAD src0_sel:WORD_1
	v_cvt_f32_f16_e32 v7, v46
	v_add3_u32 v0, s29, v13, v1
	v_mul_lo_u32 v0, s6, v0
	v_cvt_f32_f16_e32 v13, v39
	v_cvt_f32_f16_sdwa v1, v39 dst_sel:DWORD dst_unused:UNUSED_PAD src0_sel:WORD_1
	v_mul_f32_e32 v9, v5, v6
	v_add_u32_e32 v0, s7, v0
	v_lshl_add_u32 v12, v0, 9, v14
	v_mul_f32_e32 v6, v5, v13
	v_mov_b32_e32 v13, 0
	v_lshlrev_b64 v[15:16], 2, v[12:13]
	s_and_b64 s[0:1], vcc, s[0:1]
	v_mul_f32_e32 v8, v5, v7
	v_mul_f32_e32 v7, v5, v1
	v_mov_b32_e32 v1, s21
	v_add_co_u32_e32 v15, vcc, s20, v15
	v_addc_co_u32_e32 v16, vcc, v1, v16, vcc
	global_store_dwordx4 v[15:16], v[6:9], off
	v_cvt_f32_f16_e32 v15, v44
	v_cvt_f32_f16_e32 v6, v45
	v_cvt_f32_f16_sdwa v1, v45 dst_sel:DWORD dst_unused:UNUSED_PAD src0_sel:WORD_1
	v_cvt_f32_f16_sdwa v7, v44 dst_sel:DWORD dst_unused:UNUSED_PAD src0_sel:WORD_1
	v_mov_b32_e32 v16, v13
	v_mul_f32_e32 v8, v5, v6
	v_mul_f32_e32 v6, v5, v15
	v_add_u32_e32 v15, 0x80, v12
	v_lshlrev_b64 v[15:16], 2, v[15:16]
	v_mul_f32_e32 v9, v5, v1
	v_mov_b32_e32 v1, s21
	v_add_co_u32_e32 v15, vcc, s20, v15
	v_mul_f32_e32 v7, v5, v7
	v_addc_co_u32_e32 v16, vcc, v1, v16, vcc
	global_store_dwordx4 v[15:16], v[6:9], off
	v_cvt_f32_f16_e32 v15, v42
	v_cvt_f32_f16_e32 v6, v43
	v_cvt_f32_f16_sdwa v1, v43 dst_sel:DWORD dst_unused:UNUSED_PAD src0_sel:WORD_1
	v_cvt_f32_f16_sdwa v7, v42 dst_sel:DWORD dst_unused:UNUSED_PAD src0_sel:WORD_1
	v_mov_b32_e32 v16, v13
	v_mul_f32_e32 v8, v5, v6
	v_mul_f32_e32 v6, v5, v15
	v_add_u32_e32 v15, 0x100, v12
	v_lshlrev_b64 v[15:16], 2, v[15:16]
	v_mul_f32_e32 v9, v5, v1
	v_mov_b32_e32 v1, s21
	v_add_co_u32_e32 v15, vcc, s20, v15
	v_mul_f32_e32 v7, v5, v7
	v_addc_co_u32_e32 v16, vcc, v1, v16, vcc
	v_cvt_f32_f16_sdwa v1, v41 dst_sel:DWORD dst_unused:UNUSED_PAD src0_sel:WORD_1
	global_store_dwordx4 v[15:16], v[6:9], off
	v_cvt_f32_f16_e32 v15, v40
	v_cvt_f32_f16_e32 v6, v41
	v_cvt_f32_f16_sdwa v9, v40 dst_sel:DWORD dst_unused:UNUSED_PAD src0_sel:WORD_1
	v_add_u32_e32 v12, 0x180, v12
	v_lshlrev_b64 v[12:13], 2, v[12:13]
	v_mul_f32_e32 v8, v5, v1
	v_mov_b32_e32 v1, s21
	v_add_co_u32_e32 v12, vcc, s20, v12
	v_mul_f32_e32 v7, v5, v6
	v_mul_f32_e32 v6, v5, v9
	v_mul_f32_e32 v5, v5, v15
	v_addc_co_u32_e32 v13, vcc, v1, v13, vcc
	global_store_dwordx4 v[12:13], v[5:8], off
	s_and_saveexec_b64 s[2:3], s[0:1]
	s_cbranch_execz .LBB26_39
; %bb.38:
	v_ashrrev_i32_e32 v1, 31, v0
	v_lshlrev_b64 v[5:6], 3, v[0:1]
	v_mov_b32_e32 v1, s23
	v_add_co_u32_e32 v5, vcc, s22, v5
	v_addc_co_u32_e32 v6, vcc, v1, v6, vcc
	v_mov_b32_e32 v7, v10
	v_mov_b32_e32 v8, v3
	global_store_dwordx2 v[5:6], v[7:8], off
.LBB26_39:
	s_or_b64 exec, exec, s[2:3]
	s_andn2_b64 vcc, exec, s[4:5]
	v_mov_b32_e32 v1, 1.0
	s_cbranch_vccnz .LBB26_41
; %bb.40:
	v_div_scale_f32 v1, s[2:3], v2, v2, 1.0
	v_div_scale_f32 v3, vcc, 1.0, v2, 1.0
	v_rcp_f32_e32 v5, v1
	v_fma_f32 v6, -v1, v5, 1.0
	v_fmac_f32_e32 v5, v6, v5
	v_mul_f32_e32 v6, v3, v5
	v_fma_f32 v7, -v1, v6, v3
	v_fmac_f32_e32 v6, v7, v5
	v_fma_f32 v1, -v1, v6, v3
	v_div_fmas_f32 v1, v1, v5, v6
	v_div_fixup_f32 v1, v1, v2, 1.0
.LBB26_41:
	v_cvt_f32_f16_sdwa v3, v38 dst_sel:DWORD dst_unused:UNUSED_PAD src0_sel:WORD_1
	v_cvt_f32_f16_e32 v5, v38
	v_cvt_f32_f16_e32 v9, v35
	v_add_u32_e32 v0, s6, v0
	v_lshl_add_u32 v2, v0, 9, v14
	v_cvt_f32_f16_sdwa v6, v35 dst_sel:DWORD dst_unused:UNUSED_PAD src0_sel:WORD_1
	v_mul_f32_e32 v8, v1, v3
	v_mov_b32_e32 v3, 0
	v_mul_f32_e32 v7, v1, v5
	v_mul_f32_e32 v5, v1, v9
	v_lshlrev_b64 v[9:10], 2, v[2:3]
	v_mov_b32_e32 v12, s21
	v_add_co_u32_e32 v9, vcc, s20, v9
	v_mul_f32_e32 v6, v1, v6
	v_addc_co_u32_e32 v10, vcc, v12, v10, vcc
	global_store_dwordx4 v[9:10], v[5:8], off
	v_cvt_f32_f16_sdwa v9, v36 dst_sel:DWORD dst_unused:UNUSED_PAD src0_sel:WORD_1
	v_cvt_f32_f16_sdwa v5, v37 dst_sel:DWORD dst_unused:UNUSED_PAD src0_sel:WORD_1
	v_cvt_f32_f16_e32 v6, v37
	v_cvt_f32_f16_e32 v10, v36
	v_mul_f32_e32 v8, v1, v5
	v_mul_f32_e32 v7, v1, v6
	;; [unrolled: 1-line block ×4, first 2 shown]
	v_add_u32_e32 v9, 0x80, v2
	v_mov_b32_e32 v10, v3
	v_lshlrev_b64 v[9:10], 2, v[9:10]
	v_add_co_u32_e32 v9, vcc, s20, v9
	v_addc_co_u32_e32 v10, vcc, v12, v10, vcc
	global_store_dwordx4 v[9:10], v[5:8], off
	v_cvt_f32_f16_sdwa v9, v33 dst_sel:DWORD dst_unused:UNUSED_PAD src0_sel:WORD_1
	v_cvt_f32_f16_sdwa v5, v34 dst_sel:DWORD dst_unused:UNUSED_PAD src0_sel:WORD_1
	v_cvt_f32_f16_e32 v6, v34
	v_cvt_f32_f16_e32 v10, v33
	v_mul_f32_e32 v8, v1, v5
	v_mul_f32_e32 v7, v1, v6
	;; [unrolled: 1-line block ×4, first 2 shown]
	v_add_u32_e32 v9, 0x100, v2
	v_mov_b32_e32 v10, v3
	v_lshlrev_b64 v[9:10], 2, v[9:10]
	v_add_u32_e32 v2, 0x180, v2
	v_add_co_u32_e32 v9, vcc, s20, v9
	v_addc_co_u32_e32 v10, vcc, v12, v10, vcc
	global_store_dwordx4 v[9:10], v[5:8], off
	v_cvt_f32_f16_sdwa v9, v32 dst_sel:DWORD dst_unused:UNUSED_PAD src0_sel:WORD_1
	v_cvt_f32_f16_sdwa v5, v31 dst_sel:DWORD dst_unused:UNUSED_PAD src0_sel:WORD_1
	v_cvt_f32_f16_e32 v6, v31
	v_cvt_f32_f16_e32 v10, v32
	v_mul_f32_e32 v8, v1, v5
	v_mul_f32_e32 v7, v1, v6
	;; [unrolled: 1-line block ×4, first 2 shown]
	v_lshlrev_b64 v[1:2], 2, v[2:3]
	v_mov_b32_e32 v3, s21
	v_add_co_u32_e32 v1, vcc, s20, v1
	v_addc_co_u32_e32 v2, vcc, v3, v2, vcc
	global_store_dwordx4 v[1:2], v[5:8], off
	s_and_b64 exec, exec, s[0:1]
	s_cbranch_execz .LBB26_13
; %bb.42:
	v_ashrrev_i32_e32 v1, 31, v0
	v_lshlrev_b64 v[0:1], 3, v[0:1]
	v_mov_b32_e32 v2, s23
	v_add_co_u32_e32 v0, vcc, s22, v0
	v_addc_co_u32_e32 v1, vcc, v2, v1, vcc
	v_mov_b32_e32 v3, v11
	global_store_dwordx2 v[0:1], v[3:4], off
	s_endpgm
	.section	.rodata,"a",@progbits
	.p2align	6, 0x0
	.amdhsa_kernel _ZL15flash_attn_tileILi576ELi512ELi4ELi4ELb1EEvPKcS1_S1_S1_S1_PKiPfP15HIP_vector_typeIfLj2EEffffjfiS5_IjLj3EEiiiiiiiiiiiliiliiiiil
		.amdhsa_group_segment_fixed_size 29696
		.amdhsa_private_segment_fixed_size 0
		.amdhsa_kernarg_size 464
		.amdhsa_user_sgpr_count 6
		.amdhsa_user_sgpr_private_segment_buffer 1
		.amdhsa_user_sgpr_dispatch_ptr 0
		.amdhsa_user_sgpr_queue_ptr 0
		.amdhsa_user_sgpr_kernarg_segment_ptr 1
		.amdhsa_user_sgpr_dispatch_id 0
		.amdhsa_user_sgpr_flat_scratch_init 0
		.amdhsa_user_sgpr_private_segment_size 0
		.amdhsa_uses_dynamic_stack 0
		.amdhsa_system_sgpr_private_segment_wavefront_offset 0
		.amdhsa_system_sgpr_workgroup_id_x 1
		.amdhsa_system_sgpr_workgroup_id_y 1
		.amdhsa_system_sgpr_workgroup_id_z 1
		.amdhsa_system_sgpr_workgroup_info 0
		.amdhsa_system_vgpr_workitem_id 1
		.amdhsa_next_free_vgpr 106
		.amdhsa_next_free_sgpr 98
		.amdhsa_reserve_vcc 1
		.amdhsa_reserve_flat_scratch 0
		.amdhsa_float_round_mode_32 0
		.amdhsa_float_round_mode_16_64 0
		.amdhsa_float_denorm_mode_32 3
		.amdhsa_float_denorm_mode_16_64 3
		.amdhsa_dx10_clamp 1
		.amdhsa_ieee_mode 1
		.amdhsa_fp16_overflow 0
		.amdhsa_exception_fp_ieee_invalid_op 0
		.amdhsa_exception_fp_denorm_src 0
		.amdhsa_exception_fp_ieee_div_zero 0
		.amdhsa_exception_fp_ieee_overflow 0
		.amdhsa_exception_fp_ieee_underflow 0
		.amdhsa_exception_fp_ieee_inexact 0
		.amdhsa_exception_int_div_zero 0
	.end_amdhsa_kernel
	.section	.text._ZL15flash_attn_tileILi576ELi512ELi4ELi4ELb1EEvPKcS1_S1_S1_S1_PKiPfP15HIP_vector_typeIfLj2EEffffjfiS5_IjLj3EEiiiiiiiiiiiliiliiiiil,"axG",@progbits,_ZL15flash_attn_tileILi576ELi512ELi4ELi4ELb1EEvPKcS1_S1_S1_S1_PKiPfP15HIP_vector_typeIfLj2EEffffjfiS5_IjLj3EEiiiiiiiiiiiliiliiiiil,comdat
.Lfunc_end26:
	.size	_ZL15flash_attn_tileILi576ELi512ELi4ELi4ELb1EEvPKcS1_S1_S1_S1_PKiPfP15HIP_vector_typeIfLj2EEffffjfiS5_IjLj3EEiiiiiiiiiiiliiliiiiil, .Lfunc_end26-_ZL15flash_attn_tileILi576ELi512ELi4ELi4ELb1EEvPKcS1_S1_S1_S1_PKiPfP15HIP_vector_typeIfLj2EEffffjfiS5_IjLj3EEiiiiiiiiiiiliiliiiiil
                                        ; -- End function
	.set _ZL15flash_attn_tileILi576ELi512ELi4ELi4ELb1EEvPKcS1_S1_S1_S1_PKiPfP15HIP_vector_typeIfLj2EEffffjfiS5_IjLj3EEiiiiiiiiiiiliiliiiiil.num_vgpr, 106
	.set _ZL15flash_attn_tileILi576ELi512ELi4ELi4ELb1EEvPKcS1_S1_S1_S1_PKiPfP15HIP_vector_typeIfLj2EEffffjfiS5_IjLj3EEiiiiiiiiiiiliiliiiiil.num_agpr, 0
	.set _ZL15flash_attn_tileILi576ELi512ELi4ELi4ELb1EEvPKcS1_S1_S1_S1_PKiPfP15HIP_vector_typeIfLj2EEffffjfiS5_IjLj3EEiiiiiiiiiiiliiliiiiil.numbered_sgpr, 44
	.set _ZL15flash_attn_tileILi576ELi512ELi4ELi4ELb1EEvPKcS1_S1_S1_S1_PKiPfP15HIP_vector_typeIfLj2EEffffjfiS5_IjLj3EEiiiiiiiiiiiliiliiiiil.num_named_barrier, 0
	.set _ZL15flash_attn_tileILi576ELi512ELi4ELi4ELb1EEvPKcS1_S1_S1_S1_PKiPfP15HIP_vector_typeIfLj2EEffffjfiS5_IjLj3EEiiiiiiiiiiiliiliiiiil.private_seg_size, 0
	.set _ZL15flash_attn_tileILi576ELi512ELi4ELi4ELb1EEvPKcS1_S1_S1_S1_PKiPfP15HIP_vector_typeIfLj2EEffffjfiS5_IjLj3EEiiiiiiiiiiiliiliiiiil.uses_vcc, 1
	.set _ZL15flash_attn_tileILi576ELi512ELi4ELi4ELb1EEvPKcS1_S1_S1_S1_PKiPfP15HIP_vector_typeIfLj2EEffffjfiS5_IjLj3EEiiiiiiiiiiiliiliiiiil.uses_flat_scratch, 0
	.set _ZL15flash_attn_tileILi576ELi512ELi4ELi4ELb1EEvPKcS1_S1_S1_S1_PKiPfP15HIP_vector_typeIfLj2EEffffjfiS5_IjLj3EEiiiiiiiiiiiliiliiiiil.has_dyn_sized_stack, 0
	.set _ZL15flash_attn_tileILi576ELi512ELi4ELi4ELb1EEvPKcS1_S1_S1_S1_PKiPfP15HIP_vector_typeIfLj2EEffffjfiS5_IjLj3EEiiiiiiiiiiiliiliiiiil.has_recursion, 0
	.set _ZL15flash_attn_tileILi576ELi512ELi4ELi4ELb1EEvPKcS1_S1_S1_S1_PKiPfP15HIP_vector_typeIfLj2EEffffjfiS5_IjLj3EEiiiiiiiiiiiliiliiiiil.has_indirect_call, 0
	.section	.AMDGPU.csdata,"",@progbits
; Kernel info:
; codeLenInByte = 30292
; TotalNumSgprs: 48
; NumVgprs: 106
; ScratchSize: 0
; MemoryBound: 0
; FloatMode: 240
; IeeeMode: 1
; LDSByteSize: 29696 bytes/workgroup (compile time only)
; SGPRBlocks: 12
; VGPRBlocks: 26
; NumSGPRsForWavesPerEU: 102
; NumVGPRsForWavesPerEU: 106
; Occupancy: 2
; WaveLimiterHint : 1
; COMPUTE_PGM_RSRC2:SCRATCH_EN: 0
; COMPUTE_PGM_RSRC2:USER_SGPR: 6
; COMPUTE_PGM_RSRC2:TRAP_HANDLER: 0
; COMPUTE_PGM_RSRC2:TGID_X_EN: 1
; COMPUTE_PGM_RSRC2:TGID_Y_EN: 1
; COMPUTE_PGM_RSRC2:TGID_Z_EN: 1
; COMPUTE_PGM_RSRC2:TIDIG_COMP_CNT: 1
	.section	.text._ZL15flash_attn_tileILi576ELi512ELi2ELi4ELb1EEvPKcS1_S1_S1_S1_PKiPfP15HIP_vector_typeIfLj2EEffffjfiS5_IjLj3EEiiiiiiiiiiiliiliiiiil,"axG",@progbits,_ZL15flash_attn_tileILi576ELi512ELi2ELi4ELb1EEvPKcS1_S1_S1_S1_PKiPfP15HIP_vector_typeIfLj2EEffffjfiS5_IjLj3EEiiiiiiiiiiiliiliiiiil,comdat
	.globl	_ZL15flash_attn_tileILi576ELi512ELi2ELi4ELb1EEvPKcS1_S1_S1_S1_PKiPfP15HIP_vector_typeIfLj2EEffffjfiS5_IjLj3EEiiiiiiiiiiiliiliiiiil ; -- Begin function _ZL15flash_attn_tileILi576ELi512ELi2ELi4ELb1EEvPKcS1_S1_S1_S1_PKiPfP15HIP_vector_typeIfLj2EEffffjfiS5_IjLj3EEiiiiiiiiiiiliiliiiiil
	.p2align	8
	.type	_ZL15flash_attn_tileILi576ELi512ELi2ELi4ELb1EEvPKcS1_S1_S1_S1_PKiPfP15HIP_vector_typeIfLj2EEffffjfiS5_IjLj3EEiiiiiiiiiiiliiliiiiil,@function
_ZL15flash_attn_tileILi576ELi512ELi2ELi4ELb1EEvPKcS1_S1_S1_S1_PKiPfP15HIP_vector_typeIfLj2EEffffjfiS5_IjLj3EEiiiiiiiiiiiliiliiiiil: ; @_ZL15flash_attn_tileILi576ELi512ELi2ELi4ELb1EEvPKcS1_S1_S1_S1_PKiPfP15HIP_vector_typeIfLj2EEffffjfiS5_IjLj3EEiiiiiiiiiiiliiliiiiil
; %bb.0:
	s_load_dwordx4 s[0:3], s[4:5], 0x5c
	s_load_dwordx2 s[28:29], s[4:5], 0x80
	s_load_dwordx2 s[34:35], s[4:5], 0xb8
	s_mov_b64 s[30:31], 0
	s_waitcnt lgkmcnt(0)
	s_ashr_i32 s9, s3, 31
	s_lshr_b32 s9, s9, 30
	s_add_i32 s9, s3, s9
	s_ashr_i32 s9, s9, 2
	v_cvt_f32_u32_e32 v2, s9
	s_sub_i32 s10, 0, s9
	v_rcp_iflag_f32_e32 v2, v2
	v_mul_f32_e32 v2, 0x4f7ffffe, v2
	v_cvt_u32_f32_e32 v2, v2
	v_readfirstlane_b32 s11, v2
	s_mul_i32 s10, s10, s11
	s_mul_hi_u32 s10, s11, s10
	s_add_i32 s11, s11, s10
	s_mul_hi_u32 s10, s8, s11
	s_mul_i32 s11, s10, s9
	s_sub_i32 s11, s8, s11
	s_add_i32 s12, s10, 1
	s_sub_i32 s13, s11, s9
	s_cmp_ge_u32 s11, s9
	s_cselect_b32 s10, s12, s10
	s_cselect_b32 s11, s13, s11
	s_add_i32 s12, s10, 1
	s_cmp_ge_u32 s11, s9
	s_cselect_b32 s33, s12, s10
	s_abs_i32 s9, s29
	v_cvt_f32_u32_e32 v2, s9
	s_lshl_b32 s8, s8, 2
	s_mul_i32 s12, s33, s3
	s_xor_b32 s10, s3, s29
	v_rcp_iflag_f32_e32 v2, v2
	s_sub_i32 s13, 0, s9
	s_sub_i32 s29, s8, s12
	s_abs_i32 s11, s3
	v_mul_f32_e32 v2, 0x4f7ffffe, v2
	v_cvt_u32_f32_e32 v2, v2
	s_ashr_i32 s10, s10, 31
	v_readfirstlane_b32 s8, v2
	s_mul_i32 s13, s13, s8
	s_mul_hi_u32 s12, s8, s13
	s_add_i32 s8, s8, s12
	s_mul_hi_u32 s8, s11, s8
	s_mul_i32 s12, s8, s9
	s_sub_i32 s11, s11, s12
	s_add_i32 s13, s8, 1
	s_sub_i32 s12, s11, s9
	s_cmp_ge_u32 s11, s9
	s_cselect_b32 s8, s13, s8
	s_cselect_b32 s11, s12, s11
	s_add_i32 s12, s8, 1
	s_cmp_ge_u32 s11, s9
	s_cselect_b32 s8, s12, s8
	s_xor_b32 s8, s8, s10
	s_sub_i32 s37, s8, s10
	s_abs_i32 s36, s37
	v_cvt_f32_u32_e32 v2, s36
	s_load_dwordx16 s[8:23], s[4:5], 0x0
	v_rcp_iflag_f32_e32 v2, v2
	s_waitcnt lgkmcnt(0)
	s_cmp_eq_u64 s[14:15], 0
	v_mul_f32_e32 v2, 0x4f7ffffe, v2
	v_cvt_u32_f32_e32 v2, v2
	v_readfirstlane_b32 s38, v2
	s_cbranch_scc1 .LBB27_2
; %bb.1:
	s_abs_i32 s26, s34
	v_cvt_f32_u32_e32 v2, s26
	s_sub_i32 s31, 0, s26
	s_abs_i32 s30, s33
	s_ashr_i32 s27, s33, 31
	v_rcp_iflag_f32_e32 v2, v2
	s_load_dwordx2 s[24:25], s[4:5], 0xc8
	v_mul_f32_e32 v2, 0x4f7ffffe, v2
	v_cvt_u32_f32_e32 v2, v2
	v_readfirstlane_b32 s34, v2
	s_mul_i32 s31, s31, s34
	s_mul_hi_u32 s31, s34, s31
	s_add_i32 s34, s34, s31
	s_mul_hi_u32 s31, s30, s34
	s_mul_i32 s31, s31, s26
	s_sub_i32 s30, s30, s31
	s_sub_i32 s31, s30, s26
	s_cmp_ge_u32 s30, s26
	s_cselect_b32 s30, s31, s30
	s_sub_i32 s31, s30, s26
	s_cmp_ge_u32 s30, s26
	s_cselect_b32 s26, s31, s30
	s_xor_b32 s26, s26, s27
	s_sub_i32 s26, s26, s27
	s_ashr_i32 s27, s26, 31
	s_waitcnt lgkmcnt(0)
	s_mul_hi_u32 s30, s24, s26
	s_mul_i32 s27, s24, s27
	s_mul_i32 s25, s25, s26
	s_add_i32 s27, s30, s27
	s_add_i32 s27, s27, s25
	s_mul_i32 s24, s24, s26
	s_add_u32 s30, s14, s24
	s_addc_u32 s31, s15, s27
.LBB27_2:
	s_load_dwordx4 s[24:27], s[4:5], 0x70
	v_lshrrev_b32_e32 v2, 2, v1
	v_lshl_add_u32 v13, s6, 1, v2
	v_mul_hi_u32 v4, s0, v13
	v_and_b32_e32 v12, 3, v1
	s_waitcnt lgkmcnt(0)
	s_mul_i32 s14, s33, s26
	s_ashr_i32 s26, s14, 31
	s_mul_i32 s15, s29, s25
	s_add_u32 s8, s8, s14
	v_add_u32_e32 v4, v13, v4
	s_addc_u32 s9, s9, s26
	s_ashr_i32 s14, s15, 31
	v_lshrrev_b32_e32 v4, s1, v4
	s_add_u32 s26, s8, s15
	v_mul_lo_u32 v4, v4, s2
	s_addc_u32 s27, s9, s14
	s_ashr_i32 s9, s25, 31
	s_mov_b32 s8, s25
	s_lshr_b64 s[14:15], s[8:9], 2
	v_mad_u64_u32 v[2:3], s[14:15], s14, v12, 0
	s_ashr_i32 s25, s24, 31
	v_sub_u32_e32 v4, v13, v4
	s_lshr_b64 s[0:1], s[24:25], 2
	v_mad_u64_u32 v[5:6], s[0:1], s0, v4, 0
	s_lshr_b32 s0, s9, 2
	v_mad_u64_u32 v[7:8], s[0:1], s0, v12, v[3:4]
	v_mov_b32_e32 v3, v6
	s_lshr_b32 s0, s25, 2
	v_mad_u64_u32 v[8:9], s[0:1], s0, v4, v[3:4]
	v_mov_b32_e32 v3, v7
	v_lshlrev_b64 v[2:3], 2, v[2:3]
	v_mov_b32_e32 v6, v8
	v_mov_b32_e32 v7, s27
	v_add_co_u32_e32 v8, vcc, s26, v2
	v_addc_co_u32_e32 v7, vcc, v7, v3, vcc
	v_lshlrev_b64 v[2:3], 2, v[5:6]
	v_lshlrev_b32_e32 v5, 4, v0
	v_add_co_u32_e32 v2, vcc, v8, v2
	v_addc_co_u32_e32 v3, vcc, v7, v3, vcc
	v_add_co_u32_e32 v2, vcc, v2, v5
	v_addc_co_u32_e32 v3, vcc, 0, v3, vcc
	global_load_dwordx4 v[14:17], v[2:3], off
	global_load_dwordx4 v[18:21], v[2:3], off offset:512
	global_load_dwordx4 v[22:25], v[2:3], off offset:1024
	;; [unrolled: 1-line block ×3, first 2 shown]
	s_load_dword s8, s[4:5], 0x40
	s_movk_i32 s0, 0x480
	v_lshlrev_b32_e32 v7, 3, v0
	v_mul_u32_u24_e32 v11, 0x480, v1
	v_mad_u32_u24 v10, v1, s0, v7
	v_cmp_gt_u32_e32 vcc, 16, v0
	s_waitcnt vmcnt(3) lgkmcnt(0)
	v_fma_mixlo_f16 v5, s8, v14, 0
	v_fma_mixlo_f16 v6, s8, v15, 0
	v_fma_mixlo_f16 v8, s8, v16, 0
	v_fma_mixlo_f16 v9, s8, v17, 0
	s_waitcnt vmcnt(2)
	v_fma_mixlo_f16 v14, s8, v18, 0
	v_fma_mixlo_f16 v15, s8, v19, 0
	;; [unrolled: 1-line block ×4, first 2 shown]
	s_waitcnt vmcnt(1)
	v_fma_mixlo_f16 v18, s8, v22, 0
	v_fma_mixlo_f16 v19, s8, v23, 0
	s_waitcnt vmcnt(0)
	v_fma_mixlo_f16 v22, s8, v26, 0
	v_fma_mixlo_f16 v23, s8, v27, 0
	v_lshlrev_b32_e32 v6, 16, v6
	v_and_b32_e32 v5, 0xffff, v5
	v_lshlrev_b32_e32 v9, 16, v9
	v_and_b32_e32 v8, 0xffff, v8
	;; [unrolled: 2-line block ×3, first 2 shown]
	v_fma_mixlo_f16 v20, s8, v24, 0
	v_fma_mixlo_f16 v21, s8, v25, 0
	;; [unrolled: 1-line block ×4, first 2 shown]
	v_lshlrev_b32_e32 v17, 16, v17
	v_and_b32_e32 v16, 0xffff, v16
	v_lshlrev_b32_e32 v19, 16, v19
	v_and_b32_e32 v18, 0xffff, v18
	v_lshlrev_b32_e32 v23, 16, v23
	v_and_b32_e32 v22, 0xffff, v22
	v_or_b32_e32 v5, v6, v5
	v_or3_b32 v6, v9, v8, 0
	v_or_b32_e32 v8, v15, v14
	v_lshlrev_b32_e32 v21, 16, v21
	v_and_b32_e32 v20, 0xffff, v20
	v_lshlrev_b32_e32 v25, 16, v25
	v_and_b32_e32 v24, 0xffff, v24
	v_or3_b32 v9, v17, v16, 0
	v_or_b32_e32 v14, v19, v18
	v_or_b32_e32 v16, v23, v22
	v_or3_b32 v5, 0, 0, v5
	v_or3_b32 v8, 0, 0, v8
	;; [unrolled: 1-line block ×6, first 2 shown]
	ds_write2_b64 v10, v[5:6], v[8:9] offset1:32
	ds_write2_b64 v10, v[14:15], v[16:17] offset0:64 offset1:96
	s_and_saveexec_b64 s[0:1], vcc
	s_cbranch_execz .LBB27_4
; %bb.3:
	global_load_dwordx4 v[14:17], v[2:3], off offset:2048
	s_waitcnt vmcnt(0)
	v_fma_mixlo_f16 v2, s8, v14, 0
	v_fma_mixlo_f16 v3, s8, v15, 0
	v_fma_mixlo_f16 v5, s8, v16, 0
	v_fma_mixlo_f16 v6, s8, v17, 0
	v_lshlrev_b32_e32 v3, 16, v3
	v_and_b32_e32 v2, 0xffff, v2
	v_lshlrev_b32_e32 v6, 16, v6
	v_and_b32_e32 v5, 0xffff, v5
	v_or_b32_e32 v2, v3, v2
	v_or3_b32 v3, v6, v5, 0
	v_or3_b32 v2, 0, 0, v2
	v_add_u32_e32 v5, v11, v7
	ds_write_b64 v5, v[2:3] offset:1024
.LBB27_4:
	s_or_b64 exec, exec, s[0:1]
	s_cmp_eq_u64 s[18:19], 0
	s_waitcnt lgkmcnt(0)
	s_barrier
	s_cbranch_scc1 .LBB27_6
; %bb.5:
	s_load_dword s0, s[4:5], 0xd0
	s_mov_b32 s1, 0
	s_waitcnt lgkmcnt(0)
	s_mul_i32 s0, s0, s33
	s_add_i32 s0, s0, s6
	s_lshl_b64 s[0:1], s[0:1], 2
	s_add_u32 s0, s18, s0
	s_addc_u32 s1, s19, s1
	s_load_dword s28, s[0:1], 0x0
.LBB27_6:
	s_lshl_b32 s6, s7, 6
	v_lshlrev_b32_e32 v14, 2, v0
	s_waitcnt lgkmcnt(0)
	s_cmp_lt_i32 s6, s28
	v_mbcnt_lo_u32_b32 v2, -1, 0
	s_cbranch_scc1 .LBB27_15
; %bb.7:
	v_mbcnt_hi_u32_b32 v15, -1, v2
	v_and_b32_e32 v3, 0x60, v15
	v_add_u32_e32 v41, 32, v3
	v_xor_b32_e32 v46, 16, v15
	v_xor_b32_e32 v45, 8, v15
	;; [unrolled: 1-line block ×5, first 2 shown]
	s_cbranch_execz .LBB27_16
; %bb.8:
	v_mov_b32_e32 v32, 0
	v_mov_b32_e32 v47, 0
	;; [unrolled: 1-line block ×10, first 2 shown]
.LBB27_9:
	v_cmp_lt_i32_e32 vcc, v46, v41
	v_cndmask_b32_e32 v1, v15, v46, vcc
	v_lshlrev_b32_e32 v1, 2, v1
	ds_bpermute_b32 v1, v1, v47
	v_cmp_lt_i32_e32 vcc, v45, v41
	v_cndmask_b32_e32 v2, v15, v45, vcc
	v_lshlrev_b32_e32 v2, 2, v2
	v_cmp_lt_i32_e32 vcc, v44, v41
	s_waitcnt lgkmcnt(0)
	v_add_f32_e32 v1, v47, v1
	ds_bpermute_b32 v2, v2, v1
	v_cndmask_b32_e32 v3, v15, v44, vcc
	v_lshlrev_b32_e32 v3, 2, v3
	v_cmp_lt_i32_e32 vcc, v43, v41
	s_cmp_lg_u64 s[16:17], 0
	s_waitcnt lgkmcnt(0)
	v_add_f32_e32 v1, v1, v2
	ds_bpermute_b32 v2, v3, v1
	v_cndmask_b32_e32 v3, v15, v43, vcc
	v_lshlrev_b32_e32 v3, 2, v3
	v_cmp_lt_i32_e32 vcc, v42, v41
	s_cselect_b64 s[0:1], -1, 0
	s_waitcnt lgkmcnt(0)
	v_add_f32_e32 v1, v1, v2
	ds_bpermute_b32 v2, v3, v1
	v_cndmask_b32_e32 v3, v15, v42, vcc
	v_lshlrev_b32_e32 v3, 2, v3
	s_cmp_eq_u32 s7, 0
	s_cselect_b64 s[8:9], -1, 0
	s_waitcnt lgkmcnt(0)
	v_add_f32_e32 v1, v1, v2
	ds_bpermute_b32 v2, v3, v1
	s_and_b64 s[0:1], s[8:9], s[0:1]
	s_and_b64 vcc, exec, s[0:1]
	s_waitcnt lgkmcnt(0)
	v_add_f32_e32 v11, v1, v2
	s_cbranch_vccz .LBB27_11
; %bb.10:
	v_add_u32_e32 v1, s29, v12
	v_ashrrev_i32_e32 v2, 31, v1
	v_lshlrev_b64 v[1:2], 2, v[1:2]
	v_mov_b32_e32 v3, s17
	v_add_co_u32_e32 v1, vcc, s16, v1
	v_addc_co_u32_e32 v2, vcc, v3, v2, vcc
	global_load_dword v1, v[1:2], off
	v_max_f32_e32 v2, v10, v10
	s_mov_b32 s0, 0x3fb8aa3b
	s_mov_b32 s1, 0xc2ce8ed0
	s_waitcnt vmcnt(0)
	v_max_f32_e32 v3, v1, v1
	v_max_f32_e32 v2, v2, v3
	v_sub_f32_e32 v3, v10, v2
	v_sub_f32_e32 v1, v1, v2
	v_mul_f32_e32 v4, 0x3fb8aa3b, v3
	v_mul_f32_e32 v5, 0x3fb8aa3b, v1
	v_fma_f32 v6, v3, s0, -v4
	v_rndne_f32_e32 v7, v4
	v_fma_f32 v8, v1, s0, -v5
	v_rndne_f32_e32 v9, v5
	v_fmac_f32_e32 v6, 0x32a5705f, v3
	v_sub_f32_e32 v4, v4, v7
	v_fmac_f32_e32 v8, 0x32a5705f, v1
	v_sub_f32_e32 v5, v5, v9
	v_add_f32_e32 v4, v4, v6
	v_cvt_i32_f32_e32 v7, v7
	v_add_f32_e32 v5, v5, v8
	v_exp_f32_e32 v4, v4
	v_cvt_i32_f32_e32 v9, v9
	v_exp_f32_e32 v5, v5
	v_cmp_ngt_f32_e32 vcc, s1, v3
	v_ldexp_f32 v4, v4, v7
	s_mov_b32 s0, 0x42b17218
	v_ldexp_f32 v5, v5, v9
	v_cndmask_b32_e32 v4, 0, v4, vcc
	v_cmp_ngt_f32_e32 vcc, s1, v1
	v_mov_b32_e32 v6, 0x7f800000
	v_cndmask_b32_e32 v5, 0, v5, vcc
	v_cmp_nlt_f32_e32 vcc, s0, v3
	v_cndmask_b32_e32 v3, v6, v4, vcc
	v_cvt_f16_f32_e32 v4, v3
	v_cmp_nlt_f32_e32 vcc, s0, v1
	v_cndmask_b32_e32 v1, v6, v5, vcc
	v_fmac_f32_e32 v1, v11, v3
	v_mov_b32_e32 v11, v1
	v_mul_u32_u24_e32 v1, 0x10001, v4
	v_pk_mul_f16 v32, v32, v1
	v_pk_mul_f16 v33, v33, v1
	;; [unrolled: 1-line block ×8, first 2 shown]
	v_mov_b32_e32 v10, v2
.LBB27_11:
	v_cmp_gt_i32_e32 vcc, s2, v13
	s_and_saveexec_b64 s[0:1], vcc
	s_cbranch_execz .LBB27_14
; %bb.12:
	v_div_scale_f32 v1, s[0:1], v11, v11, 1.0
	v_div_scale_f32 v2, vcc, 1.0, v11, 1.0
	v_cmp_eq_u32_e64 s[0:1], 0, v0
	s_mul_i32 s33, s33, s2
	v_add_u32_e32 v4, s33, v13
	s_load_dword s4, s[4:5], 0xd4
	v_mul_lo_u32 v4, v4, s3
	v_cvt_f32_f16_sdwa v3, v33 dst_sel:DWORD dst_unused:UNUSED_PAD src0_sel:WORD_1
	v_cvt_f32_f16_e32 v9, v33
	v_cvt_f32_f16_sdwa v15, v32 dst_sel:DWORD dst_unused:UNUSED_PAD src0_sel:WORD_1
	v_cvt_f32_f16_e32 v16, v32
	s_waitcnt lgkmcnt(0)
	s_cmp_lg_u32 s4, 1
	s_cselect_b64 s[2:3], -1, 0
	v_mov_b32_e32 v8, s21
	v_rcp_f32_e32 v0, v1
	v_cvt_f32_f16_sdwa v17, v38 dst_sel:DWORD dst_unused:UNUSED_PAD src0_sel:WORD_1
	v_cvt_f32_f16_sdwa v18, v37 dst_sel:DWORD dst_unused:UNUSED_PAD src0_sel:WORD_1
	s_and_b64 s[0:1], s[0:1], s[2:3]
	v_fma_f32 v5, -v1, v0, 1.0
	v_fmac_f32_e32 v0, v5, v0
	v_mul_f32_e32 v5, v2, v0
	v_fma_f32 v6, -v1, v5, v2
	v_fmac_f32_e32 v5, v6, v0
	v_fma_f32 v1, -v1, v5, v2
	v_div_fmas_f32 v13, v1, v0, v5
	v_add3_u32 v0, s29, v12, v4
	v_mul_lo_u32 v0, s4, v0
	v_mov_b32_e32 v6, 0
	v_cvt_f32_f16_e32 v12, v38
	v_add_u32_e32 v0, s7, v0
	v_lshl_add_u32 v5, v0, 9, v14
	v_lshlrev_b64 v[1:2], 2, v[5:6]
	v_add_co_u32_e32 v7, vcc, s20, v1
	v_addc_co_u32_e32 v8, vcc, v8, v2, vcc
	v_div_fixup_f32 v1, v13, v11, 1.0
	v_cndmask_b32_e64 v13, v1, 1.0, s[2:3]
	v_mul_f32_e32 v4, v13, v3
	v_mul_f32_e32 v3, v13, v9
	;; [unrolled: 1-line block ×4, first 2 shown]
	global_store_dwordx4 v[7:8], v[1:4], off
	v_add_u32_e32 v7, 0x80, v5
	v_cvt_f32_f16_e32 v1, v37
	v_mov_b32_e32 v8, v6
	v_lshlrev_b64 v[7:8], 2, v[7:8]
	v_mov_b32_e32 v9, s21
	v_add_co_u32_e32 v7, vcc, s20, v7
	v_mul_f32_e32 v4, v13, v17
	v_mul_f32_e32 v3, v13, v12
	;; [unrolled: 1-line block ×4, first 2 shown]
	v_addc_co_u32_e32 v8, vcc, v9, v8, vcc
	global_store_dwordx4 v[7:8], v[1:4], off
	v_cvt_f32_f16_sdwa v7, v35 dst_sel:DWORD dst_unused:UNUSED_PAD src0_sel:WORD_1
	v_cvt_f32_f16_sdwa v1, v36 dst_sel:DWORD dst_unused:UNUSED_PAD src0_sel:WORD_1
	v_cvt_f32_f16_e32 v2, v36
	v_cvt_f32_f16_e32 v8, v35
	v_mul_f32_e32 v4, v13, v1
	v_mul_f32_e32 v3, v13, v2
	;; [unrolled: 1-line block ×4, first 2 shown]
	v_add_u32_e32 v7, 0x100, v5
	v_mov_b32_e32 v8, v6
	v_lshlrev_b64 v[7:8], 2, v[7:8]
	v_add_u32_e32 v5, 0x180, v5
	v_add_co_u32_e32 v7, vcc, s20, v7
	v_addc_co_u32_e32 v8, vcc, v9, v8, vcc
	global_store_dwordx4 v[7:8], v[1:4], off
	v_cvt_f32_f16_sdwa v7, v34 dst_sel:DWORD dst_unused:UNUSED_PAD src0_sel:WORD_1
	v_cvt_f32_f16_e32 v2, v31
	v_cvt_f32_f16_sdwa v1, v31 dst_sel:DWORD dst_unused:UNUSED_PAD src0_sel:WORD_1
	v_cvt_f32_f16_e32 v8, v34
	v_lshlrev_b64 v[5:6], 2, v[5:6]
	v_mul_f32_e32 v3, v13, v2
	v_mul_f32_e32 v2, v13, v7
	v_mov_b32_e32 v7, s21
	v_add_co_u32_e32 v5, vcc, s20, v5
	v_mul_f32_e32 v4, v13, v1
	v_mul_f32_e32 v1, v13, v8
	v_addc_co_u32_e32 v6, vcc, v7, v6, vcc
	global_store_dwordx4 v[5:6], v[1:4], off
	s_and_b64 exec, exec, s[0:1]
	s_cbranch_execz .LBB27_14
; %bb.13:
	v_ashrrev_i32_e32 v1, 31, v0
	v_lshlrev_b64 v[0:1], 3, v[0:1]
	v_mov_b32_e32 v2, s23
	v_add_co_u32_e32 v0, vcc, s22, v0
	v_addc_co_u32_e32 v1, vcc, v2, v1, vcc
	global_store_dwordx2 v[0:1], v[10:11], off
.LBB27_14:
	s_endpgm
.LBB27_15:
                                        ; implicit-def: $vgpr15
                                        ; implicit-def: $vgpr41
                                        ; implicit-def: $vgpr46
                                        ; implicit-def: $vgpr45
                                        ; implicit-def: $vgpr44
                                        ; implicit-def: $vgpr43
                                        ; implicit-def: $vgpr42
.LBB27_16:
	s_sub_i32 s0, 0, s36
	s_mul_i32 s0, s0, s38
	s_mul_hi_u32 s0, s38, s0
	s_add_i32 s38, s38, s0
	s_load_dwordx4 s[24:27], s[4:5], 0x98
	s_load_dword s14, s[4:5], 0x54
	s_load_dwordx2 s[0:1], s[4:5], 0x8c
	s_abs_i32 s19, s29
	s_mul_hi_u32 s34, s19, s38
	s_waitcnt lgkmcnt(0)
	s_ashr_i32 s15, s26, 2
	s_ashr_i32 s26, s35, 1
	s_ashr_i32 s18, s0, 2
	s_ashr_i32 s0, s33, 31
	s_mul_hi_u32 s35, s24, s33
	s_mul_i32 s39, s24, s0
	s_add_i32 s35, s35, s39
	s_mul_i32 s25, s25, s33
	s_ashr_i32 s38, s29, 31
	s_ashr_i32 s37, s37, 31
	s_add_i32 s35, s35, s25
	s_mul_i32 s24, s24, s33
	s_add_u32 s10, s10, s24
	s_mul_i32 s25, s34, s36
	s_addc_u32 s11, s11, s35
	s_sub_i32 s19, s19, s25
	s_xor_b32 s24, s38, s37
	s_add_i32 s25, s34, 1
	s_sub_i32 s35, s19, s36
	s_cmp_ge_u32 s19, s36
	s_cselect_b32 s25, s25, s34
	s_cselect_b32 s19, s35, s19
	s_add_i32 s34, s25, 1
	s_cmp_ge_u32 s19, s36
	s_load_dwordx2 s[8:9], s[4:5], 0xa8
	s_cselect_b32 s19, s34, s25
	s_xor_b32 s19, s19, s24
	s_sub_i32 s19, s19, s24
	s_mul_i32 s1, s19, s1
	s_ashr_i32 s24, s1, 31
	s_add_u32 s10, s10, s1
	s_waitcnt lgkmcnt(0)
	s_mul_hi_u32 s1, s8, s33
	s_mul_i32 s0, s8, s0
	s_addc_u32 s11, s11, s24
	s_add_i32 s0, s1, s0
	s_mul_i32 s1, s9, s33
	s_add_i32 s0, s0, s1
	s_mul_i32 s1, s8, s33
	s_add_u32 s1, s12, s1
	s_mul_i32 s19, s19, s27
	s_addc_u32 s0, s13, s0
	s_ashr_i32 s8, s19, 31
	s_add_u32 s9, s1, s19
	v_lshrrev_b32_e32 v3, 3, v0
	v_and_b32_e32 v10, 28, v14
	s_addc_u32 s8, s0, s8
	v_lshl_add_u32 v3, v1, 2, v3
	v_lshlrev_b32_e32 v5, 2, v10
	s_movk_i32 s0, 0x90
	v_mul_lo_u32 v8, s18, v3
	v_mad_u32_u24 v3, v3, s0, v5
	v_add_u32_e32 v16, 0x2400, v3
	v_add_u32_e32 v17, 0x3600, v3
	v_mov_b32_e32 v3, 0x2400
	v_mad_u32_u24 v18, v0, s0, v3
	v_mov_b32_e32 v3, 0x4800
	v_lshl_add_u32 v19, v1, 7, v3
	v_mul_lo_u32 v3, s15, v1
	v_mad_u64_u32 v[5:6], s[0:1], v4, s26, v[0:1]
	v_lshl_add_u32 v27, s18, 5, v8
	v_ashrrev_i32_e32 v4, 31, v3
	v_lshlrev_b64 v[3:4], 2, v[3:4]
	v_mov_b32_e32 v15, s8
	v_add_co_u32_e32 v3, vcc, s9, v3
	v_ashrrev_i32_e32 v9, 31, v8
	v_ashrrev_i32_e32 v28, 31, v27
	v_lshlrev_b32_e32 v6, 2, v14
	v_addc_co_u32_e32 v4, vcc, v15, v4, vcc
	v_lshl_add_u32 v1, v1, 10, v6
	v_add_u32_e32 v23, 0x2400, v7
	s_add_u32 s0, s4, 0xd0
	v_add_co_u32_e32 v24, vcc, v3, v6
	v_lshlrev_b64 v[6:7], 2, v[8:9]
	v_lshlrev_b64 v[8:9], 2, v[27:28]
	v_mov_b32_e32 v31, 0
	v_lshl_add_u32 v20, v0, 1, v19
	v_add_u32_e32 v21, 0x2400, v1
	v_add_u32_e32 v22, 0x2600, v1
	s_addc_u32 s1, s5, 0
	v_addc_co_u32_e32 v25, vcc, 0, v4, vcc
	v_mov_b32_e32 v40, 0xfeffffff
	v_lshlrev_b32_e32 v26, 2, v10
	s_mov_b32 s12, 0x3f200000
	s_mov_b32 s13, 0x3fb8aa3b
	s_mov_b32 s19, 0xc2ce8ed0
	s_mov_b32 s24, 0x42b17218
	v_mov_b32_e32 v27, 0xbd5c1c4e
	v_mov_b32_e32 v28, 0x3e088382
	;; [unrolled: 1-line block ×3, first 2 shown]
	s_brev_b32 s25, -2
	s_mov_b32 s26, 0x10001
	v_mov_b32_e32 v30, 0x7f800000
	v_mbcnt_hi_u32_b32 v15, -1, v2
	v_mov_b32_e32 v34, 0
	v_mov_b32_e32 v36, 0
	;; [unrolled: 1-line block ×8, first 2 shown]
.LBB27_17:                              ; =>This Inner Loop Header: Depth=1
	s_mul_hi_i32 s9, s6, s18
	s_mul_i32 s8, s6, s18
	s_lshl_b64 s[8:9], s[8:9], 2
	s_add_u32 s8, s10, s8
	s_addc_u32 s9, s11, s9
	v_mov_b32_e32 v1, s9
	v_add_co_u32_e32 v2, vcc, s8, v6
	v_addc_co_u32_e32 v3, vcc, v1, v7, vcc
	v_add_co_u32_e32 v1, vcc, v2, v26
	v_addc_co_u32_e32 v2, vcc, 0, v3, vcc
	v_mov_b32_e32 v3, s9
	v_add_co_u32_e32 v4, vcc, s8, v8
	v_addc_co_u32_e32 v10, vcc, v3, v9, vcc
	v_add_co_u32_e32 v3, vcc, v4, v26
	v_addc_co_u32_e32 v4, vcc, 0, v10, vcc
	global_load_dwordx4 v[41:44], v[1:2], off
	global_load_dwordx4 v[45:48], v[3:4], off
	v_mov_b32_e32 v10, 0
	s_waitcnt vmcnt(1)
	ds_write_b128 v16, v[41:44]
	s_waitcnt vmcnt(0)
	ds_write_b128 v17, v[45:48]
	s_waitcnt lgkmcnt(0)
	s_barrier
	ds_read_b128 v[42:45], v18
	ds_read_b128 v[46:49], v11
	v_mov_b32_e32 v41, 0
	ds_read_b128 v[50:53], v18 offset:4608
	s_waitcnt lgkmcnt(1)
	;;#ASMSTART
	v_dot2_f32_f16 v41, v42, v46, v41
	;;#ASMEND
	;;#ASMSTART
	v_dot2_f32_f16 v41, v43, v47, v41
	;;#ASMEND
	;;#ASMSTART
	v_dot2_f32_f16 v41, v44, v48, v41
	;;#ASMEND
	;;#ASMSTART
	v_dot2_f32_f16 v41, v45, v49, v41
	;;#ASMEND
	s_waitcnt lgkmcnt(0)
	;;#ASMSTART
	v_dot2_f32_f16 v10, v50, v46, v10
	;;#ASMEND
	;;#ASMSTART
	v_dot2_f32_f16 v10, v51, v47, v10
	;;#ASMEND
	;;#ASMSTART
	v_dot2_f32_f16 v10, v52, v48, v10
	;;#ASMEND
	;;#ASMSTART
	v_dot2_f32_f16 v10, v53, v49, v10
	;;#ASMEND
	ds_read_b128 v[42:45], v18 offset:16
	ds_read_b128 v[46:49], v11 offset:16
	ds_read_b128 v[50:53], v18 offset:4624
	s_waitcnt lgkmcnt(1)
	;;#ASMSTART
	v_dot2_f32_f16 v41, v42, v46, v41
	;;#ASMEND
	;;#ASMSTART
	v_dot2_f32_f16 v41, v43, v47, v41
	;;#ASMEND
	;;#ASMSTART
	v_dot2_f32_f16 v41, v44, v48, v41
	;;#ASMEND
	;;#ASMSTART
	v_dot2_f32_f16 v41, v45, v49, v41
	;;#ASMEND
	s_waitcnt lgkmcnt(0)
	;;#ASMSTART
	v_dot2_f32_f16 v10, v50, v46, v10
	;;#ASMEND
	;;#ASMSTART
	v_dot2_f32_f16 v10, v51, v47, v10
	;;#ASMEND
	;;#ASMSTART
	v_dot2_f32_f16 v10, v52, v48, v10
	;;#ASMEND
	;;#ASMSTART
	v_dot2_f32_f16 v10, v53, v49, v10
	;;#ASMEND
	ds_read_b128 v[42:45], v18 offset:32
	ds_read_b128 v[46:49], v11 offset:32
	;; [unrolled: 29-line block ×7, first 2 shown]
	ds_read_b128 v[50:53], v18 offset:4720
	s_waitcnt lgkmcnt(1)
	;;#ASMSTART
	v_dot2_f32_f16 v41, v42, v46, v41
	;;#ASMEND
	;;#ASMSTART
	v_dot2_f32_f16 v41, v43, v47, v41
	;;#ASMEND
	;; [unrolled: 3-line block ×4, first 2 shown]
	s_waitcnt lgkmcnt(0)
	;;#ASMSTART
	v_dot2_f32_f16 v10, v50, v46, v10
	;;#ASMEND
	;;#ASMSTART
	v_dot2_f32_f16 v10, v51, v47, v10
	;;#ASMEND
	;; [unrolled: 3-line block ×4, first 2 shown]
	s_barrier
	global_load_dwordx4 v[42:45], v[1:2], off offset:128
	global_load_dwordx4 v[46:49], v[3:4], off offset:128
	s_waitcnt vmcnt(1)
	ds_write_b128 v16, v[42:45]
	s_waitcnt vmcnt(0)
	ds_write_b128 v17, v[46:49]
	s_waitcnt lgkmcnt(0)
	s_barrier
	ds_read_b128 v[42:45], v18
	ds_read_b128 v[46:49], v11 offset:128
	ds_read_b128 v[50:53], v18 offset:4608
	s_waitcnt lgkmcnt(1)
	;;#ASMSTART
	v_dot2_f32_f16 v41, v42, v46, v41
	;;#ASMEND
	;;#ASMSTART
	v_dot2_f32_f16 v41, v43, v47, v41
	;;#ASMEND
	;;#ASMSTART
	v_dot2_f32_f16 v41, v44, v48, v41
	;;#ASMEND
	;;#ASMSTART
	v_dot2_f32_f16 v41, v45, v49, v41
	;;#ASMEND
	s_waitcnt lgkmcnt(0)
	;;#ASMSTART
	v_dot2_f32_f16 v10, v50, v46, v10
	;;#ASMEND
	;;#ASMSTART
	v_dot2_f32_f16 v10, v51, v47, v10
	;;#ASMEND
	;;#ASMSTART
	v_dot2_f32_f16 v10, v52, v48, v10
	;;#ASMEND
	;;#ASMSTART
	v_dot2_f32_f16 v10, v53, v49, v10
	;;#ASMEND
	ds_read_b128 v[42:45], v18 offset:16
	ds_read_b128 v[46:49], v11 offset:144
	ds_read_b128 v[50:53], v18 offset:4624
	s_waitcnt lgkmcnt(1)
	;;#ASMSTART
	v_dot2_f32_f16 v41, v42, v46, v41
	;;#ASMEND
	;;#ASMSTART
	v_dot2_f32_f16 v41, v43, v47, v41
	;;#ASMEND
	;;#ASMSTART
	v_dot2_f32_f16 v41, v44, v48, v41
	;;#ASMEND
	;;#ASMSTART
	v_dot2_f32_f16 v41, v45, v49, v41
	;;#ASMEND
	s_waitcnt lgkmcnt(0)
	;;#ASMSTART
	v_dot2_f32_f16 v10, v50, v46, v10
	;;#ASMEND
	;;#ASMSTART
	v_dot2_f32_f16 v10, v51, v47, v10
	;;#ASMEND
	;;#ASMSTART
	v_dot2_f32_f16 v10, v52, v48, v10
	;;#ASMEND
	;;#ASMSTART
	v_dot2_f32_f16 v10, v53, v49, v10
	;;#ASMEND
	ds_read_b128 v[42:45], v18 offset:32
	ds_read_b128 v[46:49], v11 offset:160
	ds_read_b128 v[50:53], v18 offset:4640
	s_waitcnt lgkmcnt(1)
	;;#ASMSTART
	v_dot2_f32_f16 v41, v42, v46, v41
	;;#ASMEND
	;;#ASMSTART
	v_dot2_f32_f16 v41, v43, v47, v41
	;;#ASMEND
	;;#ASMSTART
	v_dot2_f32_f16 v41, v44, v48, v41
	;;#ASMEND
	;;#ASMSTART
	v_dot2_f32_f16 v41, v45, v49, v41
	;;#ASMEND
	s_waitcnt lgkmcnt(0)
	;;#ASMSTART
	v_dot2_f32_f16 v10, v50, v46, v10
	;;#ASMEND
	;;#ASMSTART
	v_dot2_f32_f16 v10, v51, v47, v10
	;;#ASMEND
	;;#ASMSTART
	v_dot2_f32_f16 v10, v52, v48, v10
	;;#ASMEND
	;;#ASMSTART
	v_dot2_f32_f16 v10, v53, v49, v10
	;;#ASMEND
	ds_read_b128 v[42:45], v18 offset:48
	ds_read_b128 v[46:49], v11 offset:176
	ds_read_b128 v[50:53], v18 offset:4656
	s_waitcnt lgkmcnt(1)
	;;#ASMSTART
	v_dot2_f32_f16 v41, v42, v46, v41
	;;#ASMEND
	;;#ASMSTART
	v_dot2_f32_f16 v41, v43, v47, v41
	;;#ASMEND
	;;#ASMSTART
	v_dot2_f32_f16 v41, v44, v48, v41
	;;#ASMEND
	;;#ASMSTART
	v_dot2_f32_f16 v41, v45, v49, v41
	;;#ASMEND
	s_waitcnt lgkmcnt(0)
	;;#ASMSTART
	v_dot2_f32_f16 v10, v50, v46, v10
	;;#ASMEND
	;;#ASMSTART
	v_dot2_f32_f16 v10, v51, v47, v10
	;;#ASMEND
	;;#ASMSTART
	v_dot2_f32_f16 v10, v52, v48, v10
	;;#ASMEND
	;;#ASMSTART
	v_dot2_f32_f16 v10, v53, v49, v10
	;;#ASMEND
	ds_read_b128 v[42:45], v18 offset:64
	ds_read_b128 v[46:49], v11 offset:192
	ds_read_b128 v[50:53], v18 offset:4672
	s_waitcnt lgkmcnt(1)
	;;#ASMSTART
	v_dot2_f32_f16 v41, v42, v46, v41
	;;#ASMEND
	;;#ASMSTART
	v_dot2_f32_f16 v41, v43, v47, v41
	;;#ASMEND
	;;#ASMSTART
	v_dot2_f32_f16 v41, v44, v48, v41
	;;#ASMEND
	;;#ASMSTART
	v_dot2_f32_f16 v41, v45, v49, v41
	;;#ASMEND
	s_waitcnt lgkmcnt(0)
	;;#ASMSTART
	v_dot2_f32_f16 v10, v50, v46, v10
	;;#ASMEND
	;;#ASMSTART
	v_dot2_f32_f16 v10, v51, v47, v10
	;;#ASMEND
	;;#ASMSTART
	v_dot2_f32_f16 v10, v52, v48, v10
	;;#ASMEND
	;;#ASMSTART
	v_dot2_f32_f16 v10, v53, v49, v10
	;;#ASMEND
	ds_read_b128 v[42:45], v18 offset:80
	ds_read_b128 v[46:49], v11 offset:208
	ds_read_b128 v[50:53], v18 offset:4688
	s_waitcnt lgkmcnt(1)
	;;#ASMSTART
	v_dot2_f32_f16 v41, v42, v46, v41
	;;#ASMEND
	;;#ASMSTART
	v_dot2_f32_f16 v41, v43, v47, v41
	;;#ASMEND
	;;#ASMSTART
	v_dot2_f32_f16 v41, v44, v48, v41
	;;#ASMEND
	;;#ASMSTART
	v_dot2_f32_f16 v41, v45, v49, v41
	;;#ASMEND
	s_waitcnt lgkmcnt(0)
	;;#ASMSTART
	v_dot2_f32_f16 v10, v50, v46, v10
	;;#ASMEND
	;;#ASMSTART
	v_dot2_f32_f16 v10, v51, v47, v10
	;;#ASMEND
	;;#ASMSTART
	v_dot2_f32_f16 v10, v52, v48, v10
	;;#ASMEND
	;;#ASMSTART
	v_dot2_f32_f16 v10, v53, v49, v10
	;;#ASMEND
	ds_read_b128 v[42:45], v18 offset:96
	ds_read_b128 v[46:49], v11 offset:224
	ds_read_b128 v[50:53], v18 offset:4704
	s_waitcnt lgkmcnt(1)
	;;#ASMSTART
	v_dot2_f32_f16 v41, v42, v46, v41
	;;#ASMEND
	;;#ASMSTART
	v_dot2_f32_f16 v41, v43, v47, v41
	;;#ASMEND
	;;#ASMSTART
	v_dot2_f32_f16 v41, v44, v48, v41
	;;#ASMEND
	;;#ASMSTART
	v_dot2_f32_f16 v41, v45, v49, v41
	;;#ASMEND
	s_waitcnt lgkmcnt(0)
	;;#ASMSTART
	v_dot2_f32_f16 v10, v50, v46, v10
	;;#ASMEND
	;;#ASMSTART
	v_dot2_f32_f16 v10, v51, v47, v10
	;;#ASMEND
	;;#ASMSTART
	v_dot2_f32_f16 v10, v52, v48, v10
	;;#ASMEND
	;;#ASMSTART
	v_dot2_f32_f16 v10, v53, v49, v10
	;;#ASMEND
	ds_read_b128 v[42:45], v18 offset:112
	ds_read_b128 v[46:49], v11 offset:240
	ds_read_b128 v[50:53], v18 offset:4720
	s_waitcnt lgkmcnt(1)
	;;#ASMSTART
	v_dot2_f32_f16 v41, v42, v46, v41
	;;#ASMEND
	;;#ASMSTART
	v_dot2_f32_f16 v41, v43, v47, v41
	;;#ASMEND
	;; [unrolled: 3-line block ×4, first 2 shown]
	s_waitcnt lgkmcnt(0)
	;;#ASMSTART
	v_dot2_f32_f16 v10, v50, v46, v10
	;;#ASMEND
	;;#ASMSTART
	v_dot2_f32_f16 v10, v51, v47, v10
	;;#ASMEND
	;; [unrolled: 3-line block ×4, first 2 shown]
	s_barrier
	global_load_dwordx4 v[42:45], v[1:2], off offset:256
	global_load_dwordx4 v[46:49], v[3:4], off offset:256
	s_waitcnt vmcnt(1)
	ds_write_b128 v16, v[42:45]
	s_waitcnt vmcnt(0)
	ds_write_b128 v17, v[46:49]
	s_waitcnt lgkmcnt(0)
	s_barrier
	ds_read_b128 v[42:45], v18
	ds_read_b128 v[46:49], v11 offset:256
	ds_read_b128 v[50:53], v18 offset:4608
	s_waitcnt lgkmcnt(1)
	;;#ASMSTART
	v_dot2_f32_f16 v41, v42, v46, v41
	;;#ASMEND
	;;#ASMSTART
	v_dot2_f32_f16 v41, v43, v47, v41
	;;#ASMEND
	;;#ASMSTART
	v_dot2_f32_f16 v41, v44, v48, v41
	;;#ASMEND
	;;#ASMSTART
	v_dot2_f32_f16 v41, v45, v49, v41
	;;#ASMEND
	s_waitcnt lgkmcnt(0)
	;;#ASMSTART
	v_dot2_f32_f16 v10, v50, v46, v10
	;;#ASMEND
	;;#ASMSTART
	v_dot2_f32_f16 v10, v51, v47, v10
	;;#ASMEND
	;;#ASMSTART
	v_dot2_f32_f16 v10, v52, v48, v10
	;;#ASMEND
	;;#ASMSTART
	v_dot2_f32_f16 v10, v53, v49, v10
	;;#ASMEND
	ds_read_b128 v[42:45], v18 offset:16
	ds_read_b128 v[46:49], v11 offset:272
	ds_read_b128 v[50:53], v18 offset:4624
	s_waitcnt lgkmcnt(1)
	;;#ASMSTART
	v_dot2_f32_f16 v41, v42, v46, v41
	;;#ASMEND
	;;#ASMSTART
	v_dot2_f32_f16 v41, v43, v47, v41
	;;#ASMEND
	;;#ASMSTART
	v_dot2_f32_f16 v41, v44, v48, v41
	;;#ASMEND
	;;#ASMSTART
	v_dot2_f32_f16 v41, v45, v49, v41
	;;#ASMEND
	s_waitcnt lgkmcnt(0)
	;;#ASMSTART
	v_dot2_f32_f16 v10, v50, v46, v10
	;;#ASMEND
	;;#ASMSTART
	v_dot2_f32_f16 v10, v51, v47, v10
	;;#ASMEND
	;;#ASMSTART
	v_dot2_f32_f16 v10, v52, v48, v10
	;;#ASMEND
	;;#ASMSTART
	v_dot2_f32_f16 v10, v53, v49, v10
	;;#ASMEND
	ds_read_b128 v[42:45], v18 offset:32
	ds_read_b128 v[46:49], v11 offset:288
	ds_read_b128 v[50:53], v18 offset:4640
	s_waitcnt lgkmcnt(1)
	;;#ASMSTART
	v_dot2_f32_f16 v41, v42, v46, v41
	;;#ASMEND
	;;#ASMSTART
	v_dot2_f32_f16 v41, v43, v47, v41
	;;#ASMEND
	;;#ASMSTART
	v_dot2_f32_f16 v41, v44, v48, v41
	;;#ASMEND
	;;#ASMSTART
	v_dot2_f32_f16 v41, v45, v49, v41
	;;#ASMEND
	s_waitcnt lgkmcnt(0)
	;;#ASMSTART
	v_dot2_f32_f16 v10, v50, v46, v10
	;;#ASMEND
	;;#ASMSTART
	v_dot2_f32_f16 v10, v51, v47, v10
	;;#ASMEND
	;;#ASMSTART
	v_dot2_f32_f16 v10, v52, v48, v10
	;;#ASMEND
	;;#ASMSTART
	v_dot2_f32_f16 v10, v53, v49, v10
	;;#ASMEND
	ds_read_b128 v[42:45], v18 offset:48
	ds_read_b128 v[46:49], v11 offset:304
	ds_read_b128 v[50:53], v18 offset:4656
	s_waitcnt lgkmcnt(1)
	;;#ASMSTART
	v_dot2_f32_f16 v41, v42, v46, v41
	;;#ASMEND
	;;#ASMSTART
	v_dot2_f32_f16 v41, v43, v47, v41
	;;#ASMEND
	;;#ASMSTART
	v_dot2_f32_f16 v41, v44, v48, v41
	;;#ASMEND
	;;#ASMSTART
	v_dot2_f32_f16 v41, v45, v49, v41
	;;#ASMEND
	s_waitcnt lgkmcnt(0)
	;;#ASMSTART
	v_dot2_f32_f16 v10, v50, v46, v10
	;;#ASMEND
	;;#ASMSTART
	v_dot2_f32_f16 v10, v51, v47, v10
	;;#ASMEND
	;;#ASMSTART
	v_dot2_f32_f16 v10, v52, v48, v10
	;;#ASMEND
	;;#ASMSTART
	v_dot2_f32_f16 v10, v53, v49, v10
	;;#ASMEND
	ds_read_b128 v[42:45], v18 offset:64
	ds_read_b128 v[46:49], v11 offset:320
	ds_read_b128 v[50:53], v18 offset:4672
	s_waitcnt lgkmcnt(1)
	;;#ASMSTART
	v_dot2_f32_f16 v41, v42, v46, v41
	;;#ASMEND
	;;#ASMSTART
	v_dot2_f32_f16 v41, v43, v47, v41
	;;#ASMEND
	;;#ASMSTART
	v_dot2_f32_f16 v41, v44, v48, v41
	;;#ASMEND
	;;#ASMSTART
	v_dot2_f32_f16 v41, v45, v49, v41
	;;#ASMEND
	s_waitcnt lgkmcnt(0)
	;;#ASMSTART
	v_dot2_f32_f16 v10, v50, v46, v10
	;;#ASMEND
	;;#ASMSTART
	v_dot2_f32_f16 v10, v51, v47, v10
	;;#ASMEND
	;;#ASMSTART
	v_dot2_f32_f16 v10, v52, v48, v10
	;;#ASMEND
	;;#ASMSTART
	v_dot2_f32_f16 v10, v53, v49, v10
	;;#ASMEND
	ds_read_b128 v[42:45], v18 offset:80
	ds_read_b128 v[46:49], v11 offset:336
	ds_read_b128 v[50:53], v18 offset:4688
	s_waitcnt lgkmcnt(1)
	;;#ASMSTART
	v_dot2_f32_f16 v41, v42, v46, v41
	;;#ASMEND
	;;#ASMSTART
	v_dot2_f32_f16 v41, v43, v47, v41
	;;#ASMEND
	;;#ASMSTART
	v_dot2_f32_f16 v41, v44, v48, v41
	;;#ASMEND
	;;#ASMSTART
	v_dot2_f32_f16 v41, v45, v49, v41
	;;#ASMEND
	s_waitcnt lgkmcnt(0)
	;;#ASMSTART
	v_dot2_f32_f16 v10, v50, v46, v10
	;;#ASMEND
	;;#ASMSTART
	v_dot2_f32_f16 v10, v51, v47, v10
	;;#ASMEND
	;;#ASMSTART
	v_dot2_f32_f16 v10, v52, v48, v10
	;;#ASMEND
	;;#ASMSTART
	v_dot2_f32_f16 v10, v53, v49, v10
	;;#ASMEND
	ds_read_b128 v[42:45], v18 offset:96
	ds_read_b128 v[46:49], v11 offset:352
	ds_read_b128 v[50:53], v18 offset:4704
	s_waitcnt lgkmcnt(1)
	;;#ASMSTART
	v_dot2_f32_f16 v41, v42, v46, v41
	;;#ASMEND
	;;#ASMSTART
	v_dot2_f32_f16 v41, v43, v47, v41
	;;#ASMEND
	;;#ASMSTART
	v_dot2_f32_f16 v41, v44, v48, v41
	;;#ASMEND
	;;#ASMSTART
	v_dot2_f32_f16 v41, v45, v49, v41
	;;#ASMEND
	s_waitcnt lgkmcnt(0)
	;;#ASMSTART
	v_dot2_f32_f16 v10, v50, v46, v10
	;;#ASMEND
	;;#ASMSTART
	v_dot2_f32_f16 v10, v51, v47, v10
	;;#ASMEND
	;;#ASMSTART
	v_dot2_f32_f16 v10, v52, v48, v10
	;;#ASMEND
	;;#ASMSTART
	v_dot2_f32_f16 v10, v53, v49, v10
	;;#ASMEND
	ds_read_b128 v[42:45], v18 offset:112
	ds_read_b128 v[46:49], v11 offset:368
	ds_read_b128 v[50:53], v18 offset:4720
	s_waitcnt lgkmcnt(1)
	;;#ASMSTART
	v_dot2_f32_f16 v41, v42, v46, v41
	;;#ASMEND
	;;#ASMSTART
	v_dot2_f32_f16 v41, v43, v47, v41
	;;#ASMEND
	;;#ASMSTART
	v_dot2_f32_f16 v41, v44, v48, v41
	;;#ASMEND
	;;#ASMSTART
	v_dot2_f32_f16 v41, v45, v49, v41
	;;#ASMEND
	s_waitcnt lgkmcnt(0)
	;;#ASMSTART
	v_dot2_f32_f16 v10, v50, v46, v10
	;;#ASMEND
	;;#ASMSTART
	v_dot2_f32_f16 v10, v51, v47, v10
	;;#ASMEND
	;;#ASMSTART
	v_dot2_f32_f16 v10, v52, v48, v10
	;;#ASMEND
	;;#ASMSTART
	v_dot2_f32_f16 v10, v53, v49, v10
	;;#ASMEND
	s_barrier
	global_load_dwordx4 v[42:45], v[1:2], off offset:384
	global_load_dwordx4 v[46:49], v[3:4], off offset:384
	s_waitcnt vmcnt(1)
	ds_write_b128 v16, v[42:45]
	s_waitcnt vmcnt(0)
	ds_write_b128 v17, v[46:49]
	s_waitcnt lgkmcnt(0)
	s_barrier
	ds_read_b128 v[42:45], v18
	ds_read_b128 v[46:49], v11 offset:384
	ds_read_b128 v[50:53], v18 offset:4608
	s_waitcnt lgkmcnt(1)
	;;#ASMSTART
	v_dot2_f32_f16 v41, v42, v46, v41
	;;#ASMEND
	;;#ASMSTART
	v_dot2_f32_f16 v41, v43, v47, v41
	;;#ASMEND
	;;#ASMSTART
	v_dot2_f32_f16 v41, v44, v48, v41
	;;#ASMEND
	;;#ASMSTART
	v_dot2_f32_f16 v41, v45, v49, v41
	;;#ASMEND
	s_waitcnt lgkmcnt(0)
	;;#ASMSTART
	v_dot2_f32_f16 v10, v50, v46, v10
	;;#ASMEND
	;;#ASMSTART
	v_dot2_f32_f16 v10, v51, v47, v10
	;;#ASMEND
	;;#ASMSTART
	v_dot2_f32_f16 v10, v52, v48, v10
	;;#ASMEND
	;;#ASMSTART
	v_dot2_f32_f16 v10, v53, v49, v10
	;;#ASMEND
	ds_read_b128 v[42:45], v18 offset:16
	ds_read_b128 v[46:49], v11 offset:400
	ds_read_b128 v[50:53], v18 offset:4624
	s_waitcnt lgkmcnt(1)
	;;#ASMSTART
	v_dot2_f32_f16 v41, v42, v46, v41
	;;#ASMEND
	;;#ASMSTART
	v_dot2_f32_f16 v41, v43, v47, v41
	;;#ASMEND
	;;#ASMSTART
	v_dot2_f32_f16 v41, v44, v48, v41
	;;#ASMEND
	;;#ASMSTART
	v_dot2_f32_f16 v41, v45, v49, v41
	;;#ASMEND
	s_waitcnt lgkmcnt(0)
	;;#ASMSTART
	v_dot2_f32_f16 v10, v50, v46, v10
	;;#ASMEND
	;;#ASMSTART
	v_dot2_f32_f16 v10, v51, v47, v10
	;;#ASMEND
	;;#ASMSTART
	v_dot2_f32_f16 v10, v52, v48, v10
	;;#ASMEND
	;;#ASMSTART
	v_dot2_f32_f16 v10, v53, v49, v10
	;;#ASMEND
	ds_read_b128 v[42:45], v18 offset:32
	;; [unrolled: 29-line block ×7, first 2 shown]
	ds_read_b128 v[46:49], v11 offset:496
	ds_read_b128 v[50:53], v18 offset:4720
	s_waitcnt lgkmcnt(1)
	;;#ASMSTART
	v_dot2_f32_f16 v41, v42, v46, v41
	;;#ASMEND
	;;#ASMSTART
	v_dot2_f32_f16 v41, v43, v47, v41
	;;#ASMEND
	;; [unrolled: 3-line block ×4, first 2 shown]
	s_waitcnt lgkmcnt(0)
	;;#ASMSTART
	v_dot2_f32_f16 v10, v50, v46, v10
	;;#ASMEND
	;;#ASMSTART
	v_dot2_f32_f16 v10, v51, v47, v10
	;;#ASMEND
	;; [unrolled: 3-line block ×4, first 2 shown]
	s_barrier
	global_load_dwordx4 v[42:45], v[1:2], off offset:512
	global_load_dwordx4 v[46:49], v[3:4], off offset:512
	s_waitcnt vmcnt(1)
	ds_write_b128 v16, v[42:45]
	s_waitcnt vmcnt(0)
	ds_write_b128 v17, v[46:49]
	s_waitcnt lgkmcnt(0)
	s_barrier
	ds_read_b128 v[42:45], v18
	ds_read_b128 v[46:49], v11 offset:512
	ds_read_b128 v[50:53], v18 offset:4608
	s_waitcnt lgkmcnt(1)
	;;#ASMSTART
	v_dot2_f32_f16 v41, v42, v46, v41
	;;#ASMEND
	;;#ASMSTART
	v_dot2_f32_f16 v41, v43, v47, v41
	;;#ASMEND
	;;#ASMSTART
	v_dot2_f32_f16 v41, v44, v48, v41
	;;#ASMEND
	;;#ASMSTART
	v_dot2_f32_f16 v41, v45, v49, v41
	;;#ASMEND
	s_waitcnt lgkmcnt(0)
	;;#ASMSTART
	v_dot2_f32_f16 v10, v50, v46, v10
	;;#ASMEND
	;;#ASMSTART
	v_dot2_f32_f16 v10, v51, v47, v10
	;;#ASMEND
	;;#ASMSTART
	v_dot2_f32_f16 v10, v52, v48, v10
	;;#ASMEND
	;;#ASMSTART
	v_dot2_f32_f16 v10, v53, v49, v10
	;;#ASMEND
	ds_read_b128 v[42:45], v18 offset:16
	ds_read_b128 v[46:49], v11 offset:528
	ds_read_b128 v[50:53], v18 offset:4624
	s_waitcnt lgkmcnt(1)
	;;#ASMSTART
	v_dot2_f32_f16 v41, v42, v46, v41
	;;#ASMEND
	;;#ASMSTART
	v_dot2_f32_f16 v41, v43, v47, v41
	;;#ASMEND
	;;#ASMSTART
	v_dot2_f32_f16 v41, v44, v48, v41
	;;#ASMEND
	;;#ASMSTART
	v_dot2_f32_f16 v41, v45, v49, v41
	;;#ASMEND
	s_waitcnt lgkmcnt(0)
	;;#ASMSTART
	v_dot2_f32_f16 v10, v50, v46, v10
	;;#ASMEND
	;;#ASMSTART
	v_dot2_f32_f16 v10, v51, v47, v10
	;;#ASMEND
	;;#ASMSTART
	v_dot2_f32_f16 v10, v52, v48, v10
	;;#ASMEND
	;;#ASMSTART
	v_dot2_f32_f16 v10, v53, v49, v10
	;;#ASMEND
	ds_read_b128 v[42:45], v18 offset:32
	;; [unrolled: 29-line block ×7, first 2 shown]
	ds_read_b128 v[46:49], v11 offset:624
	ds_read_b128 v[50:53], v18 offset:4720
	s_waitcnt lgkmcnt(1)
	;;#ASMSTART
	v_dot2_f32_f16 v41, v42, v46, v41
	;;#ASMEND
	;;#ASMSTART
	v_dot2_f32_f16 v41, v43, v47, v41
	;;#ASMEND
	;; [unrolled: 3-line block ×4, first 2 shown]
	s_waitcnt lgkmcnt(0)
	;;#ASMSTART
	v_dot2_f32_f16 v10, v50, v46, v10
	;;#ASMEND
	;;#ASMSTART
	v_dot2_f32_f16 v10, v51, v47, v10
	;;#ASMEND
	;; [unrolled: 3-line block ×4, first 2 shown]
	s_barrier
	global_load_dwordx4 v[42:45], v[1:2], off offset:640
	global_load_dwordx4 v[46:49], v[3:4], off offset:640
	s_waitcnt vmcnt(1)
	ds_write_b128 v16, v[42:45]
	s_waitcnt vmcnt(0)
	ds_write_b128 v17, v[46:49]
	s_waitcnt lgkmcnt(0)
	s_barrier
	ds_read_b128 v[42:45], v18
	ds_read_b128 v[46:49], v11 offset:640
	ds_read_b128 v[50:53], v18 offset:4608
	s_waitcnt lgkmcnt(1)
	;;#ASMSTART
	v_dot2_f32_f16 v41, v42, v46, v41
	;;#ASMEND
	;;#ASMSTART
	v_dot2_f32_f16 v41, v43, v47, v41
	;;#ASMEND
	;;#ASMSTART
	v_dot2_f32_f16 v41, v44, v48, v41
	;;#ASMEND
	;;#ASMSTART
	v_dot2_f32_f16 v41, v45, v49, v41
	;;#ASMEND
	s_waitcnt lgkmcnt(0)
	;;#ASMSTART
	v_dot2_f32_f16 v10, v50, v46, v10
	;;#ASMEND
	;;#ASMSTART
	v_dot2_f32_f16 v10, v51, v47, v10
	;;#ASMEND
	;;#ASMSTART
	v_dot2_f32_f16 v10, v52, v48, v10
	;;#ASMEND
	;;#ASMSTART
	v_dot2_f32_f16 v10, v53, v49, v10
	;;#ASMEND
	ds_read_b128 v[42:45], v18 offset:16
	ds_read_b128 v[46:49], v11 offset:656
	ds_read_b128 v[50:53], v18 offset:4624
	s_waitcnt lgkmcnt(1)
	;;#ASMSTART
	v_dot2_f32_f16 v41, v42, v46, v41
	;;#ASMEND
	;;#ASMSTART
	v_dot2_f32_f16 v41, v43, v47, v41
	;;#ASMEND
	;;#ASMSTART
	v_dot2_f32_f16 v41, v44, v48, v41
	;;#ASMEND
	;;#ASMSTART
	v_dot2_f32_f16 v41, v45, v49, v41
	;;#ASMEND
	s_waitcnt lgkmcnt(0)
	;;#ASMSTART
	v_dot2_f32_f16 v10, v50, v46, v10
	;;#ASMEND
	;;#ASMSTART
	v_dot2_f32_f16 v10, v51, v47, v10
	;;#ASMEND
	;;#ASMSTART
	v_dot2_f32_f16 v10, v52, v48, v10
	;;#ASMEND
	;;#ASMSTART
	v_dot2_f32_f16 v10, v53, v49, v10
	;;#ASMEND
	ds_read_b128 v[42:45], v18 offset:32
	;; [unrolled: 29-line block ×7, first 2 shown]
	ds_read_b128 v[46:49], v11 offset:752
	ds_read_b128 v[50:53], v18 offset:4720
	s_waitcnt lgkmcnt(1)
	;;#ASMSTART
	v_dot2_f32_f16 v41, v42, v46, v41
	;;#ASMEND
	;;#ASMSTART
	v_dot2_f32_f16 v41, v43, v47, v41
	;;#ASMEND
	;; [unrolled: 3-line block ×4, first 2 shown]
	s_waitcnt lgkmcnt(0)
	;;#ASMSTART
	v_dot2_f32_f16 v10, v50, v46, v10
	;;#ASMEND
	;;#ASMSTART
	v_dot2_f32_f16 v10, v51, v47, v10
	;;#ASMEND
	;; [unrolled: 3-line block ×4, first 2 shown]
	s_barrier
	global_load_dwordx4 v[42:45], v[1:2], off offset:768
	global_load_dwordx4 v[46:49], v[3:4], off offset:768
	s_waitcnt vmcnt(1)
	ds_write_b128 v16, v[42:45]
	s_waitcnt vmcnt(0)
	ds_write_b128 v17, v[46:49]
	s_waitcnt lgkmcnt(0)
	s_barrier
	ds_read_b128 v[42:45], v18
	ds_read_b128 v[46:49], v11 offset:768
	ds_read_b128 v[50:53], v18 offset:4608
	s_waitcnt lgkmcnt(1)
	;;#ASMSTART
	v_dot2_f32_f16 v41, v42, v46, v41
	;;#ASMEND
	;;#ASMSTART
	v_dot2_f32_f16 v41, v43, v47, v41
	;;#ASMEND
	;;#ASMSTART
	v_dot2_f32_f16 v41, v44, v48, v41
	;;#ASMEND
	;;#ASMSTART
	v_dot2_f32_f16 v41, v45, v49, v41
	;;#ASMEND
	s_waitcnt lgkmcnt(0)
	;;#ASMSTART
	v_dot2_f32_f16 v10, v50, v46, v10
	;;#ASMEND
	;;#ASMSTART
	v_dot2_f32_f16 v10, v51, v47, v10
	;;#ASMEND
	;;#ASMSTART
	v_dot2_f32_f16 v10, v52, v48, v10
	;;#ASMEND
	;;#ASMSTART
	v_dot2_f32_f16 v10, v53, v49, v10
	;;#ASMEND
	ds_read_b128 v[42:45], v18 offset:16
	ds_read_b128 v[46:49], v11 offset:784
	ds_read_b128 v[50:53], v18 offset:4624
	s_waitcnt lgkmcnt(1)
	;;#ASMSTART
	v_dot2_f32_f16 v41, v42, v46, v41
	;;#ASMEND
	;;#ASMSTART
	v_dot2_f32_f16 v41, v43, v47, v41
	;;#ASMEND
	;;#ASMSTART
	v_dot2_f32_f16 v41, v44, v48, v41
	;;#ASMEND
	;;#ASMSTART
	v_dot2_f32_f16 v41, v45, v49, v41
	;;#ASMEND
	s_waitcnt lgkmcnt(0)
	;;#ASMSTART
	v_dot2_f32_f16 v10, v50, v46, v10
	;;#ASMEND
	;;#ASMSTART
	v_dot2_f32_f16 v10, v51, v47, v10
	;;#ASMEND
	;;#ASMSTART
	v_dot2_f32_f16 v10, v52, v48, v10
	;;#ASMEND
	;;#ASMSTART
	v_dot2_f32_f16 v10, v53, v49, v10
	;;#ASMEND
	ds_read_b128 v[42:45], v18 offset:32
	ds_read_b128 v[46:49], v11 offset:800
	ds_read_b128 v[50:53], v18 offset:4640
	s_waitcnt lgkmcnt(1)
	;;#ASMSTART
	v_dot2_f32_f16 v41, v42, v46, v41
	;;#ASMEND
	;;#ASMSTART
	v_dot2_f32_f16 v41, v43, v47, v41
	;;#ASMEND
	;;#ASMSTART
	v_dot2_f32_f16 v41, v44, v48, v41
	;;#ASMEND
	;;#ASMSTART
	v_dot2_f32_f16 v41, v45, v49, v41
	;;#ASMEND
	s_waitcnt lgkmcnt(0)
	;;#ASMSTART
	v_dot2_f32_f16 v10, v50, v46, v10
	;;#ASMEND
	;;#ASMSTART
	v_dot2_f32_f16 v10, v51, v47, v10
	;;#ASMEND
	;;#ASMSTART
	v_dot2_f32_f16 v10, v52, v48, v10
	;;#ASMEND
	;;#ASMSTART
	v_dot2_f32_f16 v10, v53, v49, v10
	;;#ASMEND
	ds_read_b128 v[42:45], v18 offset:48
	ds_read_b128 v[46:49], v11 offset:816
	ds_read_b128 v[50:53], v18 offset:4656
	s_waitcnt lgkmcnt(1)
	;;#ASMSTART
	v_dot2_f32_f16 v41, v42, v46, v41
	;;#ASMEND
	;;#ASMSTART
	v_dot2_f32_f16 v41, v43, v47, v41
	;;#ASMEND
	;;#ASMSTART
	v_dot2_f32_f16 v41, v44, v48, v41
	;;#ASMEND
	;;#ASMSTART
	v_dot2_f32_f16 v41, v45, v49, v41
	;;#ASMEND
	s_waitcnt lgkmcnt(0)
	;;#ASMSTART
	v_dot2_f32_f16 v10, v50, v46, v10
	;;#ASMEND
	;;#ASMSTART
	v_dot2_f32_f16 v10, v51, v47, v10
	;;#ASMEND
	;;#ASMSTART
	v_dot2_f32_f16 v10, v52, v48, v10
	;;#ASMEND
	;;#ASMSTART
	v_dot2_f32_f16 v10, v53, v49, v10
	;;#ASMEND
	ds_read_b128 v[42:45], v18 offset:64
	ds_read_b128 v[46:49], v11 offset:832
	ds_read_b128 v[50:53], v18 offset:4672
	s_waitcnt lgkmcnt(1)
	;;#ASMSTART
	v_dot2_f32_f16 v41, v42, v46, v41
	;;#ASMEND
	;;#ASMSTART
	v_dot2_f32_f16 v41, v43, v47, v41
	;;#ASMEND
	;;#ASMSTART
	v_dot2_f32_f16 v41, v44, v48, v41
	;;#ASMEND
	;;#ASMSTART
	v_dot2_f32_f16 v41, v45, v49, v41
	;;#ASMEND
	s_waitcnt lgkmcnt(0)
	;;#ASMSTART
	v_dot2_f32_f16 v10, v50, v46, v10
	;;#ASMEND
	;;#ASMSTART
	v_dot2_f32_f16 v10, v51, v47, v10
	;;#ASMEND
	;;#ASMSTART
	v_dot2_f32_f16 v10, v52, v48, v10
	;;#ASMEND
	;;#ASMSTART
	v_dot2_f32_f16 v10, v53, v49, v10
	;;#ASMEND
	ds_read_b128 v[42:45], v18 offset:80
	ds_read_b128 v[46:49], v11 offset:848
	ds_read_b128 v[50:53], v18 offset:4688
	s_waitcnt lgkmcnt(1)
	;;#ASMSTART
	v_dot2_f32_f16 v41, v42, v46, v41
	;;#ASMEND
	;;#ASMSTART
	v_dot2_f32_f16 v41, v43, v47, v41
	;;#ASMEND
	;;#ASMSTART
	v_dot2_f32_f16 v41, v44, v48, v41
	;;#ASMEND
	;;#ASMSTART
	v_dot2_f32_f16 v41, v45, v49, v41
	;;#ASMEND
	s_waitcnt lgkmcnt(0)
	;;#ASMSTART
	v_dot2_f32_f16 v10, v50, v46, v10
	;;#ASMEND
	;;#ASMSTART
	v_dot2_f32_f16 v10, v51, v47, v10
	;;#ASMEND
	;;#ASMSTART
	v_dot2_f32_f16 v10, v52, v48, v10
	;;#ASMEND
	;;#ASMSTART
	v_dot2_f32_f16 v10, v53, v49, v10
	;;#ASMEND
	ds_read_b128 v[42:45], v18 offset:96
	ds_read_b128 v[46:49], v11 offset:864
	ds_read_b128 v[50:53], v18 offset:4704
	s_waitcnt lgkmcnt(1)
	;;#ASMSTART
	v_dot2_f32_f16 v41, v42, v46, v41
	;;#ASMEND
	;;#ASMSTART
	v_dot2_f32_f16 v41, v43, v47, v41
	;;#ASMEND
	;;#ASMSTART
	v_dot2_f32_f16 v41, v44, v48, v41
	;;#ASMEND
	;;#ASMSTART
	v_dot2_f32_f16 v41, v45, v49, v41
	;;#ASMEND
	s_waitcnt lgkmcnt(0)
	;;#ASMSTART
	v_dot2_f32_f16 v10, v50, v46, v10
	;;#ASMEND
	;;#ASMSTART
	v_dot2_f32_f16 v10, v51, v47, v10
	;;#ASMEND
	;;#ASMSTART
	v_dot2_f32_f16 v10, v52, v48, v10
	;;#ASMEND
	;;#ASMSTART
	v_dot2_f32_f16 v10, v53, v49, v10
	;;#ASMEND
	ds_read_b128 v[42:45], v18 offset:112
	ds_read_b128 v[46:49], v11 offset:880
	ds_read_b128 v[50:53], v18 offset:4720
	s_waitcnt lgkmcnt(1)
	;;#ASMSTART
	v_dot2_f32_f16 v41, v42, v46, v41
	;;#ASMEND
	;;#ASMSTART
	v_dot2_f32_f16 v41, v43, v47, v41
	;;#ASMEND
	;; [unrolled: 3-line block ×4, first 2 shown]
	s_waitcnt lgkmcnt(0)
	;;#ASMSTART
	v_dot2_f32_f16 v10, v50, v46, v10
	;;#ASMEND
	;;#ASMSTART
	v_dot2_f32_f16 v10, v51, v47, v10
	;;#ASMEND
	;;#ASMSTART
	v_dot2_f32_f16 v10, v52, v48, v10
	;;#ASMEND
	;;#ASMSTART
	v_dot2_f32_f16 v10, v53, v49, v10
	;;#ASMEND
	s_barrier
	global_load_dwordx4 v[42:45], v[1:2], off offset:896
	global_load_dwordx4 v[46:49], v[3:4], off offset:896
	s_waitcnt vmcnt(1)
	ds_write_b128 v16, v[42:45]
	s_waitcnt vmcnt(0)
	ds_write_b128 v17, v[46:49]
	s_waitcnt lgkmcnt(0)
	s_barrier
	ds_read_b128 v[42:45], v18
	ds_read_b128 v[46:49], v11 offset:896
	ds_read_b128 v[50:53], v18 offset:4608
	s_waitcnt lgkmcnt(1)
	;;#ASMSTART
	v_dot2_f32_f16 v41, v42, v46, v41
	;;#ASMEND
	;;#ASMSTART
	v_dot2_f32_f16 v41, v43, v47, v41
	;;#ASMEND
	;;#ASMSTART
	v_dot2_f32_f16 v41, v44, v48, v41
	;;#ASMEND
	;;#ASMSTART
	v_dot2_f32_f16 v41, v45, v49, v41
	;;#ASMEND
	s_waitcnt lgkmcnt(0)
	;;#ASMSTART
	v_dot2_f32_f16 v10, v50, v46, v10
	;;#ASMEND
	;;#ASMSTART
	v_dot2_f32_f16 v10, v51, v47, v10
	;;#ASMEND
	;;#ASMSTART
	v_dot2_f32_f16 v10, v52, v48, v10
	;;#ASMEND
	;;#ASMSTART
	v_dot2_f32_f16 v10, v53, v49, v10
	;;#ASMEND
	ds_read_b128 v[42:45], v18 offset:16
	ds_read_b128 v[46:49], v11 offset:912
	ds_read_b128 v[50:53], v18 offset:4624
	s_waitcnt lgkmcnt(1)
	;;#ASMSTART
	v_dot2_f32_f16 v41, v42, v46, v41
	;;#ASMEND
	;;#ASMSTART
	v_dot2_f32_f16 v41, v43, v47, v41
	;;#ASMEND
	;;#ASMSTART
	v_dot2_f32_f16 v41, v44, v48, v41
	;;#ASMEND
	;;#ASMSTART
	v_dot2_f32_f16 v41, v45, v49, v41
	;;#ASMEND
	s_waitcnt lgkmcnt(0)
	;;#ASMSTART
	v_dot2_f32_f16 v10, v50, v46, v10
	;;#ASMEND
	;;#ASMSTART
	v_dot2_f32_f16 v10, v51, v47, v10
	;;#ASMEND
	;;#ASMSTART
	v_dot2_f32_f16 v10, v52, v48, v10
	;;#ASMEND
	;;#ASMSTART
	v_dot2_f32_f16 v10, v53, v49, v10
	;;#ASMEND
	ds_read_b128 v[42:45], v18 offset:32
	;; [unrolled: 29-line block ×7, first 2 shown]
	ds_read_b128 v[46:49], v11 offset:1008
	ds_read_b128 v[50:53], v18 offset:4720
	s_waitcnt lgkmcnt(1)
	;;#ASMSTART
	v_dot2_f32_f16 v41, v42, v46, v41
	;;#ASMEND
	;;#ASMSTART
	v_dot2_f32_f16 v41, v43, v47, v41
	;;#ASMEND
	;; [unrolled: 3-line block ×4, first 2 shown]
	s_waitcnt lgkmcnt(0)
	;;#ASMSTART
	v_dot2_f32_f16 v10, v50, v46, v10
	;;#ASMEND
	;;#ASMSTART
	v_dot2_f32_f16 v10, v51, v47, v10
	;;#ASMEND
	;; [unrolled: 3-line block ×4, first 2 shown]
	s_barrier
	global_load_dwordx4 v[42:45], v[1:2], off offset:1024
	global_load_dwordx4 v[46:49], v[3:4], off offset:1024
	s_waitcnt vmcnt(1)
	ds_write_b128 v16, v[42:45]
	s_waitcnt vmcnt(0)
	ds_write_b128 v17, v[46:49]
	s_waitcnt lgkmcnt(0)
	s_barrier
	ds_read_b128 v[1:4], v18
	ds_read_b128 v[42:45], v11 offset:1024
	ds_read_b128 v[46:49], v18 offset:4608
	s_waitcnt lgkmcnt(1)
	;;#ASMSTART
	v_dot2_f32_f16 v41, v1, v42, v41
	;;#ASMEND
	;;#ASMSTART
	v_dot2_f32_f16 v41, v2, v43, v41
	;;#ASMEND
	;;#ASMSTART
	v_dot2_f32_f16 v41, v3, v44, v41
	;;#ASMEND
	;;#ASMSTART
	v_dot2_f32_f16 v41, v4, v45, v41
	;;#ASMEND
	s_waitcnt lgkmcnt(0)
	;;#ASMSTART
	v_dot2_f32_f16 v10, v46, v42, v10
	;;#ASMEND
	;;#ASMSTART
	v_dot2_f32_f16 v10, v47, v43, v10
	;;#ASMEND
	;;#ASMSTART
	v_dot2_f32_f16 v10, v48, v44, v10
	;;#ASMEND
	;;#ASMSTART
	v_dot2_f32_f16 v10, v49, v45, v10
	;;#ASMEND
	ds_read_b128 v[1:4], v18 offset:16
	ds_read_b128 v[42:45], v11 offset:1040
	ds_read_b128 v[46:49], v18 offset:4624
	s_waitcnt lgkmcnt(1)
	;;#ASMSTART
	v_dot2_f32_f16 v41, v1, v42, v41
	;;#ASMEND
	;;#ASMSTART
	v_dot2_f32_f16 v41, v2, v43, v41
	;;#ASMEND
	;;#ASMSTART
	v_dot2_f32_f16 v41, v3, v44, v41
	;;#ASMEND
	;;#ASMSTART
	v_dot2_f32_f16 v41, v4, v45, v41
	;;#ASMEND
	s_waitcnt lgkmcnt(0)
	;;#ASMSTART
	v_dot2_f32_f16 v10, v46, v42, v10
	;;#ASMEND
	;;#ASMSTART
	v_dot2_f32_f16 v10, v47, v43, v10
	;;#ASMEND
	;;#ASMSTART
	v_dot2_f32_f16 v10, v48, v44, v10
	;;#ASMEND
	;;#ASMSTART
	v_dot2_f32_f16 v10, v49, v45, v10
	;;#ASMEND
	ds_read_b128 v[1:4], v18 offset:32
	;; [unrolled: 29-line block ×7, first 2 shown]
	ds_read_b128 v[42:45], v11 offset:1136
	ds_read_b128 v[46:49], v18 offset:4720
	s_waitcnt lgkmcnt(1)
	;;#ASMSTART
	v_dot2_f32_f16 v41, v1, v42, v41
	;;#ASMEND
	;;#ASMSTART
	v_dot2_f32_f16 v41, v2, v43, v41
	;;#ASMEND
	;; [unrolled: 3-line block ×4, first 2 shown]
	s_waitcnt lgkmcnt(0)
	;;#ASMSTART
	v_dot2_f32_f16 v10, v46, v42, v10
	;;#ASMEND
	;;#ASMSTART
	v_dot2_f32_f16 v10, v47, v43, v10
	;;#ASMEND
	;; [unrolled: 3-line block ×3, first 2 shown]
	v_cmp_nlt_f32_e64 s[8:9], |v41|, s12
	;;#ASMSTART
	v_dot2_f32_f16 v10, v49, v45, v10
	;;#ASMEND
                                        ; implicit-def: $vgpr3
	s_and_saveexec_b64 s[34:35], s[8:9]
	s_xor_b64 s[8:9], exec, s[34:35]
	s_cbranch_execz .LBB27_19
; %bb.18:                               ;   in Loop: Header=BB27_17 Depth=1
	v_add_f32_e64 v1, |v41|, |v41|
	v_mul_f32_e32 v2, 0x3fb8aa3b, v1
	v_rndne_f32_e32 v3, v2
	v_sub_f32_e32 v4, v2, v3
	v_fma_f32 v2, v1, s13, -v2
	v_fmac_f32_e32 v2, 0x32a5705f, v1
	v_add_f32_e32 v2, v4, v2
	v_cvt_i32_f32_e32 v3, v3
	v_exp_f32_e32 v2, v2
	v_cmp_ngt_f32_e32 vcc, s19, v1
	v_ldexp_f32 v2, v2, v3
	v_cndmask_b32_e32 v2, 0, v2, vcc
	v_cmp_nlt_f32_e32 vcc, s24, v1
	v_cndmask_b32_e32 v1, v30, v2, vcc
	v_add_f32_e32 v1, 1.0, v1
	v_rcp_f32_e32 v1, v1
	v_fma_f32 v3, v1, -2.0, 1.0
.LBB27_19:                              ;   in Loop: Header=BB27_17 Depth=1
	s_andn2_saveexec_b64 s[8:9], s[8:9]
; %bb.20:                               ;   in Loop: Header=BB27_17 Depth=1
	v_mul_f32_e32 v1, v41, v41
	v_mov_b32_e32 v2, 0x3ca908c9
	v_fmac_f32_e32 v2, 0xbbbac73d, v1
	v_fma_f32 v2, v1, v2, v27
	v_fma_f32 v2, v1, v2, v28
	;; [unrolled: 1-line block ×3, first 2 shown]
	v_mul_f32_e64 v2, |v41|, v2
	v_fma_f32 v3, v1, v2, |v41|
; %bb.21:                               ;   in Loop: Header=BB27_17 Depth=1
	s_or_b64 exec, exec, s[8:9]
	v_add_u32_e32 v1, s6, v5
	v_ashrrev_i32_e32 v2, 31, v1
	v_lshlrev_b64 v[1:2], 1, v[1:2]
	v_mov_b32_e32 v4, s31
	v_add_co_u32_e32 v1, vcc, s30, v1
	v_addc_co_u32_e32 v2, vcc, v4, v2, vcc
	global_load_ushort v4, v[1:2], off
	v_cmp_nlt_f32_e64 s[8:9], |v10|, s12
                                        ; implicit-def: $vgpr47
	s_and_saveexec_b64 s[34:35], s[8:9]
	s_xor_b64 s[8:9], exec, s[34:35]
	s_cbranch_execz .LBB27_23
; %bb.22:                               ;   in Loop: Header=BB27_17 Depth=1
	v_add_f32_e64 v42, |v10|, |v10|
	v_mul_f32_e32 v43, 0x3fb8aa3b, v42
	v_rndne_f32_e32 v44, v43
	v_sub_f32_e32 v45, v43, v44
	v_fma_f32 v43, v42, s13, -v43
	v_fmac_f32_e32 v43, 0x32a5705f, v42
	v_add_f32_e32 v43, v45, v43
	v_cvt_i32_f32_e32 v44, v44
	v_exp_f32_e32 v43, v43
	v_cmp_ngt_f32_e32 vcc, s19, v42
	v_ldexp_f32 v43, v43, v44
	v_cndmask_b32_e32 v43, 0, v43, vcc
	v_cmp_nlt_f32_e32 vcc, s24, v42
	v_cndmask_b32_e32 v42, v30, v43, vcc
	v_add_f32_e32 v42, 1.0, v42
	v_rcp_f32_e32 v42, v42
	v_fma_f32 v47, v42, -2.0, 1.0
.LBB27_23:                              ;   in Loop: Header=BB27_17 Depth=1
	s_andn2_saveexec_b64 s[8:9], s[8:9]
; %bb.24:                               ;   in Loop: Header=BB27_17 Depth=1
	v_mul_f32_e32 v42, v10, v10
	v_mov_b32_e32 v43, 0x3ca908c9
	v_fmac_f32_e32 v43, 0xbbbac73d, v42
	v_fma_f32 v43, v42, v43, v27
	v_fma_f32 v43, v42, v43, v28
	;; [unrolled: 1-line block ×3, first 2 shown]
	v_mul_f32_e64 v43, |v10|, v43
	v_fma_f32 v47, v42, v43, |v10|
; %bb.25:                               ;   in Loop: Header=BB27_17 Depth=1
	s_or_b64 exec, exec, s[8:9]
	global_load_ushort v1, v[1:2], off offset:64
	v_bfi_b32 v3, s25, v3, v41
	v_and_b32_e32 v41, 0x60, v15
	v_xor_b32_e32 v42, 1, v15
	v_add_u32_e32 v41, 32, v41
	v_cmp_lt_i32_e32 vcc, v42, v41
	v_xor_b32_e32 v43, 2, v15
	v_cndmask_b32_e32 v48, v15, v42, vcc
	v_cmp_lt_i32_e32 vcc, v43, v41
	v_xor_b32_e32 v44, 4, v15
	v_cndmask_b32_e32 v49, v15, v43, vcc
	;; [unrolled: 3-line block ×3, first 2 shown]
	v_cmp_lt_i32_e32 vcc, v45, v41
	v_xor_b32_e32 v46, 16, v15
	v_bfi_b32 v10, s25, v47, v10
	s_waitcnt vmcnt(1)
	v_fma_mix_f32 v3, s14, v3, v4 op_sel_hi:[0,0,1]
	v_cndmask_b32_e32 v51, v15, v45, vcc
	v_cmp_lt_i32_e32 vcc, v46, v41
	v_add_f32_e32 v4, 0x40051340, v3
	v_cndmask_b32_e32 v52, v15, v46, vcc
	v_lshlrev_b32_e32 v47, 2, v50
	v_lshlrev_b32_e32 v49, 2, v49
	;; [unrolled: 1-line block ×3, first 2 shown]
	s_mul_hi_i32 s9, s6, s15
	s_mul_i32 s8, s6, s15
	s_lshl_b64 s[8:9], s[8:9], 2
	s_waitcnt vmcnt(0)
	s_barrier
	v_fma_mix_f32 v1, s14, v10, v1 op_sel_hi:[0,0,1]
	v_add_f32_e32 v2, 0x40051340, v1
	v_max3_f32 v2, v40, v4, v2
	v_lshlrev_b32_e32 v4, 2, v52
	ds_bpermute_b32 v4, v4, v2
	v_lshlrev_b32_e32 v10, 2, v51
	s_waitcnt lgkmcnt(0)
	v_max_f32_e32 v4, v4, v4
	v_max_f32_e32 v2, v2, v4
	ds_bpermute_b32 v4, v10, v2
	s_waitcnt lgkmcnt(0)
	v_max_f32_e32 v4, v4, v4
	v_max_f32_e32 v2, v2, v4
	ds_bpermute_b32 v4, v47, v2
	;; [unrolled: 4-line block ×4, first 2 shown]
	s_waitcnt lgkmcnt(0)
	v_max_f32_e32 v4, v4, v4
	v_max_f32_e32 v10, v2, v4
	v_sub_f32_e32 v3, v3, v10
	v_mul_f32_e32 v4, 0x3fb8aa3b, v3
	v_sub_f32_e32 v2, v40, v10
	v_fma_f32 v40, v3, s13, -v4
	v_rndne_f32_e32 v47, v4
	v_fmac_f32_e32 v40, 0x32a5705f, v3
	v_sub_f32_e32 v4, v4, v47
	v_add_f32_e32 v4, v4, v40
	v_exp_f32_e32 v4, v4
	v_cvt_i32_f32_e32 v40, v47
	v_sub_f32_e32 v1, v1, v10
	v_cmp_ngt_f32_e32 vcc, s19, v3
	v_ldexp_f32 v4, v4, v40
	v_mul_f32_e32 v40, 0x3fb8aa3b, v1
	v_fma_f32 v47, v1, s13, -v40
	v_rndne_f32_e32 v48, v40
	v_fmac_f32_e32 v47, 0x32a5705f, v1
	v_sub_f32_e32 v40, v40, v48
	v_add_f32_e32 v40, v40, v47
	v_exp_f32_e32 v40, v40
	v_cvt_i32_f32_e32 v47, v48
	v_cndmask_b32_e32 v4, 0, v4, vcc
	v_cmp_nlt_f32_e32 vcc, s24, v3
	v_cndmask_b32_e32 v3, v30, v4, vcc
	v_ldexp_f32 v40, v40, v47
	v_cmp_ngt_f32_e32 vcc, s19, v1
	v_cndmask_b32_e32 v40, 0, v40, vcc
	v_cmp_nlt_f32_e32 vcc, s24, v1
	v_cndmask_b32_e32 v1, v30, v40, vcc
	v_cvt_f16_f32_e32 v4, v3
	v_add_f32_e32 v47, v3, v1
	v_mul_f32_e32 v3, 0x3fb8aa3b, v2
	v_fma_f32 v40, v2, s13, -v3
	v_rndne_f32_e32 v48, v3
	v_fmac_f32_e32 v40, 0x32a5705f, v2
	v_sub_f32_e32 v3, v3, v48
	v_add_f32_e32 v3, v3, v40
	v_exp_f32_e32 v3, v3
	v_cvt_i32_f32_e32 v40, v48
	v_cmp_ngt_f32_e32 vcc, s19, v2
	v_cvt_f16_f32_e32 v1, v1
	ds_write_b16 v20, v4
	ds_write_b16 v20, v1 offset:64
	v_ldexp_f32 v3, v3, v40
	v_cndmask_b32_e32 v3, 0, v3, vcc
	v_cmp_nlt_f32_e32 vcc, s24, v2
	v_cndmask_b32_e32 v2, v30, v3, vcc
	v_fmac_f32_e32 v47, v39, v2
	v_cvt_f16_f32_e32 v2, v2
	v_mov_b32_e32 v1, s9
	v_mul_u32_u24_e32 v39, 0x10001, v2
	v_pk_mul_f16 v54, v34, v39
	v_add_co_u32_e32 v34, vcc, s8, v24
	v_pk_mul_f16 v52, v35, v39
	v_addc_co_u32_e32 v35, vcc, v25, v1, vcc
	global_load_dwordx4 v[1:4], v[34:35], off
	v_pk_mul_f16 v40, v37, v39
	v_pk_mul_f16 v53, v36, v39
	v_pk_mul_f16 v38, v38, v39
	v_pk_mul_f16 v31, v31, v39
	s_or_b32 s8, s6, 8
	s_mul_hi_i32 s9, s8, s15
	s_mul_i32 s8, s8, s15
	s_lshl_b64 s[8:9], s[8:9], 2
	s_waitcnt vmcnt(0)
	ds_write_b128 v21, v[1:4]
	global_load_dwordx4 v[1:4], v[34:35], off offset:512
	s_waitcnt vmcnt(0)
	ds_write_b128 v22, v[1:4]
	s_waitcnt lgkmcnt(0)
	s_barrier
	ds_read2_b64 v[34:37], v23 offset1:32
	ds_read2_b64 v[48:51], v23 offset0:64 offset1:96
	ds_read_b128 v[1:4], v19
	s_waitcnt lgkmcnt(0)
	v_mul_u32_u24_sdwa v55, v1, s26 dst_sel:DWORD dst_unused:UNUSED_PAD src0_sel:WORD_0 src1_sel:DWORD
	v_pk_mul_f16 v34, v34, v55
	v_pk_fma_f16 v56, v32, v39, v34
	v_pk_mul_f16 v32, v35, v55
	v_pk_fma_f16 v39, v33, v39, v32
	v_pk_fma_f16 v40, v36, v55, v40
	;; [unrolled: 1-line block ×4, first 2 shown]
	ds_read2_b64 v[31:34], v23 offset0:128 offset1:160
	ds_read2_b64 v[35:38], v23 offset0:192 offset1:224
	v_pk_fma_f16 v48, v48, v55, v52
	v_pk_fma_f16 v49, v49, v55, v53
	;; [unrolled: 1-line block ×3, first 2 shown]
	v_mul_u32_u24_sdwa v1, v1, s26 dst_sel:DWORD dst_unused:UNUSED_PAD src0_sel:WORD_1 src1_sel:DWORD
	s_waitcnt lgkmcnt(1)
	v_pk_fma_f16 v52, v31, v1, v56
	v_pk_fma_f16 v39, v32, v1, v39
	;; [unrolled: 1-line block ×4, first 2 shown]
	s_waitcnt lgkmcnt(0)
	v_pk_fma_f16 v48, v35, v1, v48
	v_pk_fma_f16 v49, v36, v1, v49
	;; [unrolled: 1-line block ×4, first 2 shown]
	v_add_u32_e32 v1, 0x800, v23
	ds_read2_b64 v[31:34], v1 offset1:32
	ds_read2_b64 v[35:38], v1 offset0:64 offset1:96
	v_mul_u32_u24_sdwa v54, v2, s26 dst_sel:DWORD dst_unused:UNUSED_PAD src0_sel:WORD_0 src1_sel:DWORD
	v_mul_u32_u24_sdwa v2, v2, s26 dst_sel:DWORD dst_unused:UNUSED_PAD src0_sel:WORD_1 src1_sel:DWORD
	s_waitcnt lgkmcnt(1)
	v_pk_fma_f16 v52, v31, v54, v52
	v_pk_fma_f16 v39, v32, v54, v39
	;; [unrolled: 1-line block ×4, first 2 shown]
	s_waitcnt lgkmcnt(0)
	v_pk_fma_f16 v48, v35, v54, v48
	v_pk_fma_f16 v49, v36, v54, v49
	v_pk_fma_f16 v50, v37, v54, v50
	v_pk_fma_f16 v51, v38, v54, v51
	ds_read2_b64 v[31:34], v1 offset0:128 offset1:160
	ds_read2_b64 v[35:38], v1 offset0:192 offset1:224
	v_mul_u32_u24_sdwa v54, v3, s26 dst_sel:DWORD dst_unused:UNUSED_PAD src0_sel:WORD_0 src1_sel:DWORD
	v_mul_u32_u24_sdwa v3, v3, s26 dst_sel:DWORD dst_unused:UNUSED_PAD src0_sel:WORD_1 src1_sel:DWORD
	s_waitcnt lgkmcnt(1)
	v_pk_fma_f16 v52, v31, v2, v52
	v_pk_fma_f16 v39, v32, v2, v39
	;; [unrolled: 1-line block ×4, first 2 shown]
	s_waitcnt lgkmcnt(0)
	v_pk_fma_f16 v48, v35, v2, v48
	v_pk_fma_f16 v49, v36, v2, v49
	;; [unrolled: 1-line block ×4, first 2 shown]
	v_add_u32_e32 v2, 0x1000, v23
	ds_read2_b64 v[31:34], v2 offset1:32
	ds_read2_b64 v[35:38], v2 offset0:64 offset1:96
	s_waitcnt lgkmcnt(1)
	v_pk_fma_f16 v52, v31, v54, v52
	v_pk_fma_f16 v39, v32, v54, v39
	;; [unrolled: 1-line block ×4, first 2 shown]
	s_waitcnt lgkmcnt(0)
	v_pk_fma_f16 v48, v35, v54, v48
	v_pk_fma_f16 v49, v36, v54, v49
	;; [unrolled: 1-line block ×4, first 2 shown]
	ds_read2_b64 v[31:34], v2 offset0:128 offset1:160
	ds_read2_b64 v[35:38], v2 offset0:192 offset1:224
	v_mul_u32_u24_sdwa v54, v4, s26 dst_sel:DWORD dst_unused:UNUSED_PAD src0_sel:WORD_0 src1_sel:DWORD
	v_mul_u32_u24_sdwa v4, v4, s26 dst_sel:DWORD dst_unused:UNUSED_PAD src0_sel:WORD_1 src1_sel:DWORD
	s_waitcnt lgkmcnt(1)
	v_pk_fma_f16 v52, v31, v3, v52
	v_pk_fma_f16 v39, v32, v3, v39
	;; [unrolled: 1-line block ×4, first 2 shown]
	s_waitcnt lgkmcnt(0)
	v_pk_fma_f16 v48, v35, v3, v48
	v_pk_fma_f16 v49, v36, v3, v49
	;; [unrolled: 1-line block ×4, first 2 shown]
	v_add_u32_e32 v3, 0x1800, v23
	ds_read2_b64 v[31:34], v3 offset1:32
	ds_read2_b64 v[35:38], v3 offset0:64 offset1:96
	s_waitcnt lgkmcnt(1)
	v_pk_fma_f16 v52, v31, v54, v52
	v_pk_fma_f16 v39, v32, v54, v39
	;; [unrolled: 1-line block ×4, first 2 shown]
	s_waitcnt lgkmcnt(0)
	v_pk_fma_f16 v48, v35, v54, v48
	v_pk_fma_f16 v49, v36, v54, v49
	;; [unrolled: 1-line block ×4, first 2 shown]
	ds_read2_b64 v[31:34], v3 offset0:128 offset1:160
	ds_read2_b64 v[35:38], v3 offset0:192 offset1:224
	s_waitcnt lgkmcnt(0)
	s_barrier
	v_pk_fma_f16 v52, v31, v4, v52
	v_pk_fma_f16 v54, v35, v4, v48
	v_add_co_u32_e32 v35, vcc, s8, v24
	v_mov_b32_e32 v31, s9
	v_pk_fma_f16 v55, v36, v4, v49
	v_addc_co_u32_e32 v36, vcc, v25, v31, vcc
	v_pk_fma_f16 v39, v32, v4, v39
	v_pk_fma_f16 v40, v33, v4, v40
	;; [unrolled: 1-line block ×3, first 2 shown]
	global_load_dwordx4 v[31:34], v[35:36], off
	v_pk_fma_f16 v56, v37, v4, v50
	v_pk_fma_f16 v4, v38, v4, v51
	s_or_b32 s8, s6, 16
	s_mul_hi_i32 s9, s8, s15
	s_mul_i32 s8, s8, s15
	s_lshl_b64 s[8:9], s[8:9], 2
	s_waitcnt vmcnt(0)
	ds_write_b128 v21, v[31:34]
	global_load_dwordx4 v[31:34], v[35:36], off offset:512
	s_waitcnt vmcnt(0)
	ds_write_b128 v22, v[31:34]
	s_waitcnt lgkmcnt(0)
	s_barrier
	ds_read2_b64 v[31:34], v23 offset1:32
	ds_read2_b64 v[35:38], v23 offset0:64 offset1:96
	ds_read_b128 v[48:51], v19 offset:16
	s_waitcnt lgkmcnt(0)
	v_mul_u32_u24_sdwa v57, v48, s26 dst_sel:DWORD dst_unused:UNUSED_PAD src0_sel:WORD_0 src1_sel:DWORD
	v_pk_fma_f16 v52, v31, v57, v52
	v_pk_fma_f16 v39, v32, v57, v39
	;; [unrolled: 1-line block ×8, first 2 shown]
	ds_read2_b64 v[31:34], v23 offset0:128 offset1:160
	ds_read2_b64 v[35:38], v23 offset0:192 offset1:224
	v_mul_u32_u24_sdwa v48, v48, s26 dst_sel:DWORD dst_unused:UNUSED_PAD src0_sel:WORD_1 src1_sel:DWORD
	s_waitcnt lgkmcnt(1)
	v_pk_fma_f16 v52, v31, v48, v52
	v_pk_fma_f16 v39, v32, v48, v39
	v_pk_fma_f16 v40, v33, v48, v40
	v_pk_fma_f16 v53, v34, v48, v53
	s_waitcnt lgkmcnt(0)
	v_pk_fma_f16 v54, v35, v48, v54
	v_pk_fma_f16 v55, v36, v48, v55
	v_pk_fma_f16 v56, v37, v48, v56
	v_pk_fma_f16 v4, v38, v48, v4
	ds_read2_b64 v[31:34], v1 offset1:32
	ds_read2_b64 v[35:38], v1 offset0:64 offset1:96
	v_mul_u32_u24_sdwa v48, v49, s26 dst_sel:DWORD dst_unused:UNUSED_PAD src0_sel:WORD_0 src1_sel:DWORD
	s_waitcnt lgkmcnt(1)
	v_pk_fma_f16 v52, v31, v48, v52
	v_pk_fma_f16 v39, v32, v48, v39
	v_pk_fma_f16 v40, v33, v48, v40
	v_pk_fma_f16 v53, v34, v48, v53
	s_waitcnt lgkmcnt(0)
	v_pk_fma_f16 v54, v35, v48, v54
	v_pk_fma_f16 v55, v36, v48, v55
	v_pk_fma_f16 v56, v37, v48, v56
	v_pk_fma_f16 v4, v38, v48, v4
	ds_read2_b64 v[31:34], v1 offset0:128 offset1:160
	ds_read2_b64 v[35:38], v1 offset0:192 offset1:224
	v_mul_u32_u24_sdwa v48, v49, s26 dst_sel:DWORD dst_unused:UNUSED_PAD src0_sel:WORD_1 src1_sel:DWORD
	s_waitcnt lgkmcnt(1)
	v_pk_fma_f16 v49, v31, v48, v52
	v_pk_fma_f16 v39, v32, v48, v39
	v_pk_fma_f16 v40, v33, v48, v40
	v_pk_fma_f16 v52, v34, v48, v53
	s_waitcnt lgkmcnt(0)
	v_pk_fma_f16 v53, v35, v48, v54
	v_pk_fma_f16 v54, v36, v48, v55
	v_pk_fma_f16 v55, v37, v48, v56
	v_pk_fma_f16 v4, v38, v48, v4
	ds_read2_b64 v[31:34], v2 offset1:32
	ds_read2_b64 v[35:38], v2 offset0:64 offset1:96
	v_mul_u32_u24_sdwa v48, v50, s26 dst_sel:DWORD dst_unused:UNUSED_PAD src0_sel:WORD_0 src1_sel:DWORD
	s_waitcnt lgkmcnt(1)
	v_pk_fma_f16 v49, v31, v48, v49
	v_pk_fma_f16 v39, v32, v48, v39
	v_pk_fma_f16 v40, v33, v48, v40
	v_pk_fma_f16 v52, v34, v48, v52
	s_waitcnt lgkmcnt(0)
	v_pk_fma_f16 v53, v35, v48, v53
	v_pk_fma_f16 v54, v36, v48, v54
	v_pk_fma_f16 v55, v37, v48, v55
	v_pk_fma_f16 v4, v38, v48, v4
	ds_read2_b64 v[31:34], v2 offset0:128 offset1:160
	ds_read2_b64 v[35:38], v2 offset0:192 offset1:224
	v_mul_u32_u24_sdwa v48, v50, s26 dst_sel:DWORD dst_unused:UNUSED_PAD src0_sel:WORD_1 src1_sel:DWORD
	s_waitcnt lgkmcnt(1)
	v_pk_fma_f16 v49, v31, v48, v49
	v_pk_fma_f16 v39, v32, v48, v39
	v_pk_fma_f16 v40, v33, v48, v40
	v_pk_fma_f16 v50, v34, v48, v52
	s_waitcnt lgkmcnt(0)
	v_pk_fma_f16 v52, v35, v48, v53
	v_pk_fma_f16 v53, v36, v48, v54
	v_pk_fma_f16 v54, v37, v48, v55
	v_pk_fma_f16 v4, v38, v48, v4
	ds_read2_b64 v[31:34], v3 offset1:32
	ds_read2_b64 v[35:38], v3 offset0:64 offset1:96
	v_mul_u32_u24_sdwa v48, v51, s26 dst_sel:DWORD dst_unused:UNUSED_PAD src0_sel:WORD_0 src1_sel:DWORD
	s_waitcnt lgkmcnt(1)
	v_pk_fma_f16 v49, v31, v48, v49
	v_pk_fma_f16 v39, v32, v48, v39
	v_pk_fma_f16 v40, v33, v48, v40
	v_pk_fma_f16 v50, v34, v48, v50
	s_waitcnt lgkmcnt(0)
	v_pk_fma_f16 v52, v35, v48, v52
	v_pk_fma_f16 v53, v36, v48, v53
	v_pk_fma_f16 v54, v37, v48, v54
	v_pk_fma_f16 v4, v38, v48, v4
	ds_read2_b64 v[31:34], v3 offset0:128 offset1:160
	ds_read2_b64 v[35:38], v3 offset0:192 offset1:224
	v_mul_u32_u24_sdwa v48, v51, s26 dst_sel:DWORD dst_unused:UNUSED_PAD src0_sel:WORD_1 src1_sel:DWORD
	s_waitcnt lgkmcnt(0)
	s_barrier
	v_pk_fma_f16 v55, v31, v48, v49
	v_pk_fma_f16 v52, v35, v48, v52
	v_add_co_u32_e32 v35, vcc, s8, v24
	v_mov_b32_e32 v31, s9
	v_pk_fma_f16 v53, v36, v48, v53
	v_addc_co_u32_e32 v36, vcc, v25, v31, vcc
	v_pk_fma_f16 v39, v32, v48, v39
	v_pk_fma_f16 v40, v33, v48, v40
	;; [unrolled: 1-line block ×3, first 2 shown]
	global_load_dwordx4 v[31:34], v[35:36], off
	v_pk_fma_f16 v54, v37, v48, v54
	v_pk_fma_f16 v4, v38, v48, v4
	s_or_b32 s8, s6, 24
	s_mul_hi_i32 s9, s8, s15
	s_mul_i32 s8, s8, s15
	s_lshl_b64 s[8:9], s[8:9], 2
	s_waitcnt vmcnt(0)
	ds_write_b128 v21, v[31:34]
	global_load_dwordx4 v[31:34], v[35:36], off offset:512
	s_waitcnt vmcnt(0)
	ds_write_b128 v22, v[31:34]
	s_waitcnt lgkmcnt(0)
	s_barrier
	ds_read2_b64 v[31:34], v23 offset1:32
	ds_read2_b64 v[35:38], v23 offset0:64 offset1:96
	ds_read_b128 v[48:51], v19 offset:32
	s_waitcnt lgkmcnt(0)
	v_mul_u32_u24_sdwa v57, v48, s26 dst_sel:DWORD dst_unused:UNUSED_PAD src0_sel:WORD_0 src1_sel:DWORD
	v_pk_fma_f16 v55, v31, v57, v55
	v_pk_fma_f16 v39, v32, v57, v39
	;; [unrolled: 1-line block ×8, first 2 shown]
	ds_read2_b64 v[31:34], v23 offset0:128 offset1:160
	ds_read2_b64 v[35:38], v23 offset0:192 offset1:224
	v_mul_u32_u24_sdwa v48, v48, s26 dst_sel:DWORD dst_unused:UNUSED_PAD src0_sel:WORD_1 src1_sel:DWORD
	s_waitcnt lgkmcnt(1)
	v_pk_fma_f16 v55, v31, v48, v55
	v_pk_fma_f16 v39, v32, v48, v39
	v_pk_fma_f16 v40, v33, v48, v40
	v_pk_fma_f16 v56, v34, v48, v56
	s_waitcnt lgkmcnt(0)
	v_pk_fma_f16 v52, v35, v48, v52
	v_pk_fma_f16 v53, v36, v48, v53
	v_pk_fma_f16 v54, v37, v48, v54
	v_pk_fma_f16 v4, v38, v48, v4
	ds_read2_b64 v[31:34], v1 offset1:32
	ds_read2_b64 v[35:38], v1 offset0:64 offset1:96
	v_mul_u32_u24_sdwa v48, v49, s26 dst_sel:DWORD dst_unused:UNUSED_PAD src0_sel:WORD_0 src1_sel:DWORD
	s_waitcnt lgkmcnt(1)
	v_pk_fma_f16 v55, v31, v48, v55
	v_pk_fma_f16 v39, v32, v48, v39
	v_pk_fma_f16 v40, v33, v48, v40
	v_pk_fma_f16 v56, v34, v48, v56
	s_waitcnt lgkmcnt(0)
	v_pk_fma_f16 v52, v35, v48, v52
	v_pk_fma_f16 v53, v36, v48, v53
	v_pk_fma_f16 v54, v37, v48, v54
	v_pk_fma_f16 v4, v38, v48, v4
	ds_read2_b64 v[31:34], v1 offset0:128 offset1:160
	ds_read2_b64 v[35:38], v1 offset0:192 offset1:224
	v_mul_u32_u24_sdwa v48, v49, s26 dst_sel:DWORD dst_unused:UNUSED_PAD src0_sel:WORD_1 src1_sel:DWORD
	s_waitcnt lgkmcnt(1)
	v_pk_fma_f16 v49, v31, v48, v55
	v_pk_fma_f16 v39, v32, v48, v39
	v_pk_fma_f16 v40, v33, v48, v40
	v_pk_fma_f16 v55, v34, v48, v56
	s_waitcnt lgkmcnt(0)
	v_pk_fma_f16 v52, v35, v48, v52
	v_pk_fma_f16 v53, v36, v48, v53
	v_pk_fma_f16 v54, v37, v48, v54
	v_pk_fma_f16 v4, v38, v48, v4
	ds_read2_b64 v[31:34], v2 offset1:32
	ds_read2_b64 v[35:38], v2 offset0:64 offset1:96
	v_mul_u32_u24_sdwa v48, v50, s26 dst_sel:DWORD dst_unused:UNUSED_PAD src0_sel:WORD_0 src1_sel:DWORD
	s_waitcnt lgkmcnt(1)
	v_pk_fma_f16 v49, v31, v48, v49
	v_pk_fma_f16 v39, v32, v48, v39
	v_pk_fma_f16 v40, v33, v48, v40
	v_pk_fma_f16 v55, v34, v48, v55
	s_waitcnt lgkmcnt(0)
	v_pk_fma_f16 v52, v35, v48, v52
	v_pk_fma_f16 v53, v36, v48, v53
	v_pk_fma_f16 v54, v37, v48, v54
	v_pk_fma_f16 v4, v38, v48, v4
	;; [unrolled: 26-line block ×3, first 2 shown]
	ds_read2_b64 v[31:34], v3 offset0:128 offset1:160
	ds_read2_b64 v[35:38], v3 offset0:192 offset1:224
	v_mul_u32_u24_sdwa v48, v51, s26 dst_sel:DWORD dst_unused:UNUSED_PAD src0_sel:WORD_1 src1_sel:DWORD
	s_waitcnt lgkmcnt(0)
	s_barrier
	v_pk_fma_f16 v55, v31, v48, v49
	v_pk_fma_f16 v52, v35, v48, v52
	v_add_co_u32_e32 v35, vcc, s8, v24
	v_mov_b32_e32 v31, s9
	v_pk_fma_f16 v53, v36, v48, v53
	v_addc_co_u32_e32 v36, vcc, v25, v31, vcc
	v_pk_fma_f16 v39, v32, v48, v39
	v_pk_fma_f16 v40, v33, v48, v40
	;; [unrolled: 1-line block ×3, first 2 shown]
	global_load_dwordx4 v[31:34], v[35:36], off
	v_pk_fma_f16 v54, v37, v48, v54
	v_pk_fma_f16 v4, v38, v48, v4
	s_or_b32 s8, s6, 32
	s_mul_hi_i32 s9, s8, s15
	s_mul_i32 s8, s8, s15
	s_lshl_b64 s[8:9], s[8:9], 2
	s_waitcnt vmcnt(0)
	ds_write_b128 v21, v[31:34]
	global_load_dwordx4 v[31:34], v[35:36], off offset:512
	s_waitcnt vmcnt(0)
	ds_write_b128 v22, v[31:34]
	s_waitcnt lgkmcnt(0)
	s_barrier
	ds_read2_b64 v[31:34], v23 offset1:32
	ds_read2_b64 v[35:38], v23 offset0:64 offset1:96
	ds_read_b128 v[48:51], v19 offset:48
	s_waitcnt lgkmcnt(0)
	v_mul_u32_u24_sdwa v57, v48, s26 dst_sel:DWORD dst_unused:UNUSED_PAD src0_sel:WORD_0 src1_sel:DWORD
	v_pk_fma_f16 v55, v31, v57, v55
	v_pk_fma_f16 v39, v32, v57, v39
	;; [unrolled: 1-line block ×8, first 2 shown]
	ds_read2_b64 v[31:34], v23 offset0:128 offset1:160
	ds_read2_b64 v[35:38], v23 offset0:192 offset1:224
	v_mul_u32_u24_sdwa v48, v48, s26 dst_sel:DWORD dst_unused:UNUSED_PAD src0_sel:WORD_1 src1_sel:DWORD
	s_waitcnt lgkmcnt(1)
	v_pk_fma_f16 v55, v31, v48, v55
	v_pk_fma_f16 v39, v32, v48, v39
	v_pk_fma_f16 v40, v33, v48, v40
	v_pk_fma_f16 v56, v34, v48, v56
	s_waitcnt lgkmcnt(0)
	v_pk_fma_f16 v52, v35, v48, v52
	v_pk_fma_f16 v53, v36, v48, v53
	v_pk_fma_f16 v54, v37, v48, v54
	v_pk_fma_f16 v4, v38, v48, v4
	ds_read2_b64 v[31:34], v1 offset1:32
	ds_read2_b64 v[35:38], v1 offset0:64 offset1:96
	v_mul_u32_u24_sdwa v48, v49, s26 dst_sel:DWORD dst_unused:UNUSED_PAD src0_sel:WORD_0 src1_sel:DWORD
	s_waitcnt lgkmcnt(1)
	v_pk_fma_f16 v55, v31, v48, v55
	v_pk_fma_f16 v39, v32, v48, v39
	v_pk_fma_f16 v40, v33, v48, v40
	v_pk_fma_f16 v56, v34, v48, v56
	s_waitcnt lgkmcnt(0)
	v_pk_fma_f16 v52, v35, v48, v52
	v_pk_fma_f16 v53, v36, v48, v53
	v_pk_fma_f16 v54, v37, v48, v54
	v_pk_fma_f16 v4, v38, v48, v4
	ds_read2_b64 v[31:34], v1 offset0:128 offset1:160
	ds_read2_b64 v[35:38], v1 offset0:192 offset1:224
	v_mul_u32_u24_sdwa v48, v49, s26 dst_sel:DWORD dst_unused:UNUSED_PAD src0_sel:WORD_1 src1_sel:DWORD
	s_waitcnt lgkmcnt(1)
	v_pk_fma_f16 v49, v31, v48, v55
	v_pk_fma_f16 v39, v32, v48, v39
	v_pk_fma_f16 v40, v33, v48, v40
	v_pk_fma_f16 v55, v34, v48, v56
	s_waitcnt lgkmcnt(0)
	v_pk_fma_f16 v52, v35, v48, v52
	v_pk_fma_f16 v53, v36, v48, v53
	v_pk_fma_f16 v54, v37, v48, v54
	v_pk_fma_f16 v4, v38, v48, v4
	ds_read2_b64 v[31:34], v2 offset1:32
	ds_read2_b64 v[35:38], v2 offset0:64 offset1:96
	v_mul_u32_u24_sdwa v48, v50, s26 dst_sel:DWORD dst_unused:UNUSED_PAD src0_sel:WORD_0 src1_sel:DWORD
	s_waitcnt lgkmcnt(1)
	v_pk_fma_f16 v49, v31, v48, v49
	v_pk_fma_f16 v39, v32, v48, v39
	v_pk_fma_f16 v40, v33, v48, v40
	v_pk_fma_f16 v55, v34, v48, v55
	s_waitcnt lgkmcnt(0)
	v_pk_fma_f16 v52, v35, v48, v52
	v_pk_fma_f16 v53, v36, v48, v53
	v_pk_fma_f16 v54, v37, v48, v54
	v_pk_fma_f16 v4, v38, v48, v4
	;; [unrolled: 26-line block ×3, first 2 shown]
	ds_read2_b64 v[31:34], v3 offset0:128 offset1:160
	ds_read2_b64 v[35:38], v3 offset0:192 offset1:224
	v_mul_u32_u24_sdwa v48, v51, s26 dst_sel:DWORD dst_unused:UNUSED_PAD src0_sel:WORD_1 src1_sel:DWORD
	s_waitcnt lgkmcnt(0)
	s_barrier
	v_pk_fma_f16 v55, v31, v48, v49
	v_pk_fma_f16 v52, v35, v48, v52
	v_add_co_u32_e32 v35, vcc, s8, v24
	v_mov_b32_e32 v31, s9
	v_pk_fma_f16 v53, v36, v48, v53
	v_addc_co_u32_e32 v36, vcc, v25, v31, vcc
	v_pk_fma_f16 v39, v32, v48, v39
	v_pk_fma_f16 v40, v33, v48, v40
	v_pk_fma_f16 v56, v34, v48, v50
	global_load_dwordx4 v[31:34], v[35:36], off
	v_pk_fma_f16 v54, v37, v48, v54
	v_pk_fma_f16 v4, v38, v48, v4
	s_or_b32 s8, s6, 40
	s_mul_hi_i32 s9, s8, s15
	s_mul_i32 s8, s8, s15
	s_lshl_b64 s[8:9], s[8:9], 2
	s_waitcnt vmcnt(0)
	ds_write_b128 v21, v[31:34]
	global_load_dwordx4 v[31:34], v[35:36], off offset:512
	s_waitcnt vmcnt(0)
	ds_write_b128 v22, v[31:34]
	s_waitcnt lgkmcnt(0)
	s_barrier
	ds_read2_b64 v[31:34], v23 offset1:32
	ds_read2_b64 v[35:38], v23 offset0:64 offset1:96
	ds_read_b128 v[48:51], v19 offset:64
	s_waitcnt lgkmcnt(0)
	v_mul_u32_u24_sdwa v57, v48, s26 dst_sel:DWORD dst_unused:UNUSED_PAD src0_sel:WORD_0 src1_sel:DWORD
	v_pk_fma_f16 v55, v31, v57, v55
	v_pk_fma_f16 v39, v32, v57, v39
	;; [unrolled: 1-line block ×8, first 2 shown]
	ds_read2_b64 v[31:34], v23 offset0:128 offset1:160
	ds_read2_b64 v[35:38], v23 offset0:192 offset1:224
	v_mul_u32_u24_sdwa v48, v48, s26 dst_sel:DWORD dst_unused:UNUSED_PAD src0_sel:WORD_1 src1_sel:DWORD
	s_waitcnt lgkmcnt(1)
	v_pk_fma_f16 v55, v31, v48, v55
	v_pk_fma_f16 v39, v32, v48, v39
	v_pk_fma_f16 v40, v33, v48, v40
	v_pk_fma_f16 v56, v34, v48, v56
	s_waitcnt lgkmcnt(0)
	v_pk_fma_f16 v52, v35, v48, v52
	v_pk_fma_f16 v53, v36, v48, v53
	v_pk_fma_f16 v54, v37, v48, v54
	v_pk_fma_f16 v4, v38, v48, v4
	ds_read2_b64 v[31:34], v1 offset1:32
	ds_read2_b64 v[35:38], v1 offset0:64 offset1:96
	v_mul_u32_u24_sdwa v48, v49, s26 dst_sel:DWORD dst_unused:UNUSED_PAD src0_sel:WORD_0 src1_sel:DWORD
	s_waitcnt lgkmcnt(1)
	v_pk_fma_f16 v55, v31, v48, v55
	v_pk_fma_f16 v39, v32, v48, v39
	v_pk_fma_f16 v40, v33, v48, v40
	v_pk_fma_f16 v56, v34, v48, v56
	s_waitcnt lgkmcnt(0)
	v_pk_fma_f16 v52, v35, v48, v52
	v_pk_fma_f16 v53, v36, v48, v53
	v_pk_fma_f16 v54, v37, v48, v54
	v_pk_fma_f16 v4, v38, v48, v4
	ds_read2_b64 v[31:34], v1 offset0:128 offset1:160
	ds_read2_b64 v[35:38], v1 offset0:192 offset1:224
	v_mul_u32_u24_sdwa v48, v49, s26 dst_sel:DWORD dst_unused:UNUSED_PAD src0_sel:WORD_1 src1_sel:DWORD
	s_waitcnt lgkmcnt(1)
	v_pk_fma_f16 v49, v31, v48, v55
	v_pk_fma_f16 v39, v32, v48, v39
	v_pk_fma_f16 v40, v33, v48, v40
	v_pk_fma_f16 v55, v34, v48, v56
	s_waitcnt lgkmcnt(0)
	v_pk_fma_f16 v52, v35, v48, v52
	v_pk_fma_f16 v53, v36, v48, v53
	v_pk_fma_f16 v54, v37, v48, v54
	v_pk_fma_f16 v4, v38, v48, v4
	ds_read2_b64 v[31:34], v2 offset1:32
	ds_read2_b64 v[35:38], v2 offset0:64 offset1:96
	v_mul_u32_u24_sdwa v48, v50, s26 dst_sel:DWORD dst_unused:UNUSED_PAD src0_sel:WORD_0 src1_sel:DWORD
	s_waitcnt lgkmcnt(1)
	v_pk_fma_f16 v49, v31, v48, v49
	v_pk_fma_f16 v39, v32, v48, v39
	v_pk_fma_f16 v40, v33, v48, v40
	v_pk_fma_f16 v55, v34, v48, v55
	s_waitcnt lgkmcnt(0)
	v_pk_fma_f16 v52, v35, v48, v52
	v_pk_fma_f16 v53, v36, v48, v53
	v_pk_fma_f16 v54, v37, v48, v54
	v_pk_fma_f16 v4, v38, v48, v4
	;; [unrolled: 26-line block ×3, first 2 shown]
	ds_read2_b64 v[31:34], v3 offset0:128 offset1:160
	ds_read2_b64 v[35:38], v3 offset0:192 offset1:224
	v_mul_u32_u24_sdwa v48, v51, s26 dst_sel:DWORD dst_unused:UNUSED_PAD src0_sel:WORD_1 src1_sel:DWORD
	s_waitcnt lgkmcnt(0)
	s_barrier
	v_pk_fma_f16 v55, v31, v48, v49
	v_pk_fma_f16 v52, v35, v48, v52
	v_add_co_u32_e32 v35, vcc, s8, v24
	v_mov_b32_e32 v31, s9
	v_pk_fma_f16 v53, v36, v48, v53
	v_addc_co_u32_e32 v36, vcc, v25, v31, vcc
	v_pk_fma_f16 v39, v32, v48, v39
	v_pk_fma_f16 v40, v33, v48, v40
	;; [unrolled: 1-line block ×3, first 2 shown]
	global_load_dwordx4 v[31:34], v[35:36], off
	v_pk_fma_f16 v54, v37, v48, v54
	v_pk_fma_f16 v4, v38, v48, v4
	s_or_b32 s8, s6, 48
	s_mul_hi_i32 s9, s8, s15
	s_mul_i32 s8, s8, s15
	s_lshl_b64 s[8:9], s[8:9], 2
	s_waitcnt vmcnt(0)
	ds_write_b128 v21, v[31:34]
	global_load_dwordx4 v[31:34], v[35:36], off offset:512
	s_waitcnt vmcnt(0)
	ds_write_b128 v22, v[31:34]
	s_waitcnt lgkmcnt(0)
	s_barrier
	ds_read2_b64 v[31:34], v23 offset1:32
	ds_read2_b64 v[35:38], v23 offset0:64 offset1:96
	ds_read_b128 v[48:51], v19 offset:80
	s_waitcnt lgkmcnt(0)
	v_mul_u32_u24_sdwa v57, v48, s26 dst_sel:DWORD dst_unused:UNUSED_PAD src0_sel:WORD_0 src1_sel:DWORD
	v_pk_fma_f16 v55, v31, v57, v55
	v_pk_fma_f16 v39, v32, v57, v39
	;; [unrolled: 1-line block ×8, first 2 shown]
	ds_read2_b64 v[31:34], v23 offset0:128 offset1:160
	ds_read2_b64 v[35:38], v23 offset0:192 offset1:224
	v_mul_u32_u24_sdwa v48, v48, s26 dst_sel:DWORD dst_unused:UNUSED_PAD src0_sel:WORD_1 src1_sel:DWORD
	s_waitcnt lgkmcnt(1)
	v_pk_fma_f16 v55, v31, v48, v55
	v_pk_fma_f16 v39, v32, v48, v39
	v_pk_fma_f16 v40, v33, v48, v40
	v_pk_fma_f16 v56, v34, v48, v56
	s_waitcnt lgkmcnt(0)
	v_pk_fma_f16 v52, v35, v48, v52
	v_pk_fma_f16 v53, v36, v48, v53
	v_pk_fma_f16 v54, v37, v48, v54
	v_pk_fma_f16 v4, v38, v48, v4
	ds_read2_b64 v[31:34], v1 offset1:32
	ds_read2_b64 v[35:38], v1 offset0:64 offset1:96
	v_mul_u32_u24_sdwa v48, v49, s26 dst_sel:DWORD dst_unused:UNUSED_PAD src0_sel:WORD_0 src1_sel:DWORD
	s_waitcnt lgkmcnt(1)
	v_pk_fma_f16 v55, v31, v48, v55
	v_pk_fma_f16 v39, v32, v48, v39
	v_pk_fma_f16 v40, v33, v48, v40
	v_pk_fma_f16 v56, v34, v48, v56
	s_waitcnt lgkmcnt(0)
	v_pk_fma_f16 v52, v35, v48, v52
	v_pk_fma_f16 v53, v36, v48, v53
	v_pk_fma_f16 v54, v37, v48, v54
	v_pk_fma_f16 v4, v38, v48, v4
	ds_read2_b64 v[31:34], v1 offset0:128 offset1:160
	ds_read2_b64 v[35:38], v1 offset0:192 offset1:224
	v_mul_u32_u24_sdwa v48, v49, s26 dst_sel:DWORD dst_unused:UNUSED_PAD src0_sel:WORD_1 src1_sel:DWORD
	s_waitcnt lgkmcnt(1)
	v_pk_fma_f16 v49, v31, v48, v55
	v_pk_fma_f16 v39, v32, v48, v39
	v_pk_fma_f16 v40, v33, v48, v40
	v_pk_fma_f16 v55, v34, v48, v56
	s_waitcnt lgkmcnt(0)
	v_pk_fma_f16 v52, v35, v48, v52
	v_pk_fma_f16 v53, v36, v48, v53
	v_pk_fma_f16 v54, v37, v48, v54
	v_pk_fma_f16 v4, v38, v48, v4
	ds_read2_b64 v[31:34], v2 offset1:32
	ds_read2_b64 v[35:38], v2 offset0:64 offset1:96
	v_mul_u32_u24_sdwa v48, v50, s26 dst_sel:DWORD dst_unused:UNUSED_PAD src0_sel:WORD_0 src1_sel:DWORD
	s_waitcnt lgkmcnt(1)
	v_pk_fma_f16 v49, v31, v48, v49
	v_pk_fma_f16 v39, v32, v48, v39
	v_pk_fma_f16 v40, v33, v48, v40
	v_pk_fma_f16 v55, v34, v48, v55
	s_waitcnt lgkmcnt(0)
	v_pk_fma_f16 v52, v35, v48, v52
	v_pk_fma_f16 v53, v36, v48, v53
	v_pk_fma_f16 v54, v37, v48, v54
	v_pk_fma_f16 v4, v38, v48, v4
	;; [unrolled: 26-line block ×3, first 2 shown]
	ds_read2_b64 v[31:34], v3 offset0:128 offset1:160
	ds_read2_b64 v[35:38], v3 offset0:192 offset1:224
	v_mul_u32_u24_sdwa v48, v51, s26 dst_sel:DWORD dst_unused:UNUSED_PAD src0_sel:WORD_1 src1_sel:DWORD
	s_waitcnt lgkmcnt(0)
	s_barrier
	v_pk_fma_f16 v55, v31, v48, v49
	v_pk_fma_f16 v52, v35, v48, v52
	v_add_co_u32_e32 v35, vcc, s8, v24
	v_mov_b32_e32 v31, s9
	v_pk_fma_f16 v53, v36, v48, v53
	v_addc_co_u32_e32 v36, vcc, v25, v31, vcc
	v_pk_fma_f16 v39, v32, v48, v39
	v_pk_fma_f16 v40, v33, v48, v40
	;; [unrolled: 1-line block ×3, first 2 shown]
	global_load_dwordx4 v[31:34], v[35:36], off
	v_pk_fma_f16 v54, v37, v48, v54
	v_pk_fma_f16 v4, v38, v48, v4
	s_or_b32 s8, s6, 56
	s_mul_hi_i32 s9, s8, s15
	s_mul_i32 s8, s8, s15
	s_lshl_b64 s[8:9], s[8:9], 2
	s_waitcnt vmcnt(0)
	ds_write_b128 v21, v[31:34]
	global_load_dwordx4 v[31:34], v[35:36], off offset:512
	s_waitcnt vmcnt(0)
	ds_write_b128 v22, v[31:34]
	s_waitcnt lgkmcnt(0)
	s_barrier
	ds_read2_b64 v[31:34], v23 offset1:32
	ds_read2_b64 v[35:38], v23 offset0:64 offset1:96
	ds_read_b128 v[48:51], v19 offset:96
	s_waitcnt lgkmcnt(0)
	v_mul_u32_u24_sdwa v57, v48, s26 dst_sel:DWORD dst_unused:UNUSED_PAD src0_sel:WORD_0 src1_sel:DWORD
	v_pk_fma_f16 v55, v31, v57, v55
	v_pk_fma_f16 v39, v32, v57, v39
	;; [unrolled: 1-line block ×8, first 2 shown]
	ds_read2_b64 v[31:34], v23 offset0:128 offset1:160
	ds_read2_b64 v[35:38], v23 offset0:192 offset1:224
	v_mul_u32_u24_sdwa v48, v48, s26 dst_sel:DWORD dst_unused:UNUSED_PAD src0_sel:WORD_1 src1_sel:DWORD
	s_waitcnt lgkmcnt(1)
	v_pk_fma_f16 v55, v31, v48, v55
	v_pk_fma_f16 v39, v32, v48, v39
	v_pk_fma_f16 v40, v33, v48, v40
	v_pk_fma_f16 v56, v34, v48, v56
	s_waitcnt lgkmcnt(0)
	v_pk_fma_f16 v52, v35, v48, v52
	v_pk_fma_f16 v53, v36, v48, v53
	v_pk_fma_f16 v54, v37, v48, v54
	v_pk_fma_f16 v4, v38, v48, v4
	ds_read2_b64 v[31:34], v1 offset1:32
	ds_read2_b64 v[35:38], v1 offset0:64 offset1:96
	v_mul_u32_u24_sdwa v48, v49, s26 dst_sel:DWORD dst_unused:UNUSED_PAD src0_sel:WORD_0 src1_sel:DWORD
	s_waitcnt lgkmcnt(1)
	v_pk_fma_f16 v55, v31, v48, v55
	v_pk_fma_f16 v39, v32, v48, v39
	v_pk_fma_f16 v40, v33, v48, v40
	v_pk_fma_f16 v56, v34, v48, v56
	s_waitcnt lgkmcnt(0)
	v_pk_fma_f16 v52, v35, v48, v52
	v_pk_fma_f16 v53, v36, v48, v53
	v_pk_fma_f16 v54, v37, v48, v54
	v_pk_fma_f16 v4, v38, v48, v4
	ds_read2_b64 v[31:34], v1 offset0:128 offset1:160
	ds_read2_b64 v[35:38], v1 offset0:192 offset1:224
	v_mul_u32_u24_sdwa v48, v49, s26 dst_sel:DWORD dst_unused:UNUSED_PAD src0_sel:WORD_1 src1_sel:DWORD
	s_waitcnt lgkmcnt(1)
	v_pk_fma_f16 v49, v31, v48, v55
	v_pk_fma_f16 v39, v32, v48, v39
	v_pk_fma_f16 v40, v33, v48, v40
	v_pk_fma_f16 v55, v34, v48, v56
	s_waitcnt lgkmcnt(0)
	v_pk_fma_f16 v52, v35, v48, v52
	v_pk_fma_f16 v53, v36, v48, v53
	v_pk_fma_f16 v54, v37, v48, v54
	v_pk_fma_f16 v4, v38, v48, v4
	ds_read2_b64 v[31:34], v2 offset1:32
	ds_read2_b64 v[35:38], v2 offset0:64 offset1:96
	v_mul_u32_u24_sdwa v48, v50, s26 dst_sel:DWORD dst_unused:UNUSED_PAD src0_sel:WORD_0 src1_sel:DWORD
	s_waitcnt lgkmcnt(1)
	v_pk_fma_f16 v49, v31, v48, v49
	v_pk_fma_f16 v39, v32, v48, v39
	v_pk_fma_f16 v40, v33, v48, v40
	v_pk_fma_f16 v55, v34, v48, v55
	s_waitcnt lgkmcnt(0)
	v_pk_fma_f16 v52, v35, v48, v52
	v_pk_fma_f16 v53, v36, v48, v53
	v_pk_fma_f16 v54, v37, v48, v54
	v_pk_fma_f16 v4, v38, v48, v4
	;; [unrolled: 26-line block ×3, first 2 shown]
	ds_read2_b64 v[31:34], v3 offset0:128 offset1:160
	ds_read2_b64 v[35:38], v3 offset0:192 offset1:224
	v_mul_u32_u24_sdwa v48, v51, s26 dst_sel:DWORD dst_unused:UNUSED_PAD src0_sel:WORD_1 src1_sel:DWORD
	s_waitcnt lgkmcnt(0)
	s_barrier
	v_pk_fma_f16 v55, v31, v48, v49
	v_pk_fma_f16 v52, v35, v48, v52
	v_add_co_u32_e32 v35, vcc, s8, v24
	v_mov_b32_e32 v31, s9
	v_pk_fma_f16 v53, v36, v48, v53
	v_addc_co_u32_e32 v36, vcc, v25, v31, vcc
	v_pk_fma_f16 v39, v32, v48, v39
	v_pk_fma_f16 v40, v33, v48, v40
	;; [unrolled: 1-line block ×3, first 2 shown]
	global_load_dwordx4 v[31:34], v[35:36], off
	v_pk_fma_f16 v54, v37, v48, v54
	v_pk_fma_f16 v4, v38, v48, v4
	s_waitcnt vmcnt(0)
	ds_write_b128 v21, v[31:34]
	global_load_dwordx4 v[31:34], v[35:36], off offset:512
	s_waitcnt vmcnt(0)
	ds_write_b128 v22, v[31:34]
	s_waitcnt lgkmcnt(0)
	s_barrier
	ds_read2_b64 v[31:34], v23 offset1:32
	ds_read2_b64 v[35:38], v23 offset0:64 offset1:96
	ds_read_b128 v[48:51], v19 offset:112
	s_waitcnt lgkmcnt(0)
	v_mul_u32_u24_sdwa v57, v48, s26 dst_sel:DWORD dst_unused:UNUSED_PAD src0_sel:WORD_0 src1_sel:DWORD
	v_pk_fma_f16 v55, v31, v57, v55
	v_pk_fma_f16 v39, v32, v57, v39
	;; [unrolled: 1-line block ×8, first 2 shown]
	ds_read2_b64 v[31:34], v23 offset0:128 offset1:160
	ds_read2_b64 v[35:38], v23 offset0:192 offset1:224
	v_mul_u32_u24_sdwa v48, v48, s26 dst_sel:DWORD dst_unused:UNUSED_PAD src0_sel:WORD_1 src1_sel:DWORD
	s_waitcnt lgkmcnt(1)
	v_pk_fma_f16 v55, v31, v48, v55
	v_pk_fma_f16 v39, v32, v48, v39
	v_pk_fma_f16 v40, v33, v48, v40
	v_pk_fma_f16 v56, v34, v48, v56
	s_waitcnt lgkmcnt(0)
	v_pk_fma_f16 v52, v35, v48, v52
	v_pk_fma_f16 v53, v36, v48, v53
	;; [unrolled: 1-line block ×4, first 2 shown]
	ds_read2_b64 v[31:34], v1 offset1:32
	ds_read2_b64 v[35:38], v1 offset0:64 offset1:96
	v_mul_u32_u24_sdwa v48, v49, s26 dst_sel:DWORD dst_unused:UNUSED_PAD src0_sel:WORD_0 src1_sel:DWORD
	s_waitcnt lgkmcnt(1)
	v_pk_fma_f16 v55, v31, v48, v55
	v_pk_fma_f16 v39, v32, v48, v39
	;; [unrolled: 1-line block ×4, first 2 shown]
	s_waitcnt lgkmcnt(0)
	v_pk_fma_f16 v52, v35, v48, v52
	v_pk_fma_f16 v53, v36, v48, v53
	;; [unrolled: 1-line block ×4, first 2 shown]
	ds_read2_b64 v[31:34], v1 offset0:128 offset1:160
	ds_read2_b64 v[35:38], v1 offset0:192 offset1:224
	v_mul_u32_u24_sdwa v1, v49, s26 dst_sel:DWORD dst_unused:UNUSED_PAD src0_sel:WORD_1 src1_sel:DWORD
	s_waitcnt lgkmcnt(1)
	v_pk_fma_f16 v48, v31, v1, v55
	v_pk_fma_f16 v39, v32, v1, v39
	;; [unrolled: 1-line block ×4, first 2 shown]
	s_waitcnt lgkmcnt(0)
	v_pk_fma_f16 v52, v35, v1, v52
	v_pk_fma_f16 v53, v36, v1, v53
	v_pk_fma_f16 v54, v37, v1, v54
	v_pk_fma_f16 v1, v38, v1, v4
	ds_read2_b64 v[31:34], v2 offset1:32
	ds_read2_b64 v[35:38], v2 offset0:64 offset1:96
	v_mul_u32_u24_sdwa v4, v50, s26 dst_sel:DWORD dst_unused:UNUSED_PAD src0_sel:WORD_0 src1_sel:DWORD
	s_waitcnt lgkmcnt(1)
	v_pk_fma_f16 v48, v31, v4, v48
	v_pk_fma_f16 v39, v32, v4, v39
	;; [unrolled: 1-line block ×4, first 2 shown]
	s_waitcnt lgkmcnt(0)
	v_pk_fma_f16 v52, v35, v4, v52
	v_pk_fma_f16 v53, v36, v4, v53
	v_pk_fma_f16 v54, v37, v4, v54
	v_pk_fma_f16 v1, v38, v4, v1
	ds_read2_b64 v[31:34], v2 offset0:128 offset1:160
	ds_read2_b64 v[35:38], v2 offset0:192 offset1:224
	v_mul_u32_u24_sdwa v2, v50, s26 dst_sel:DWORD dst_unused:UNUSED_PAD src0_sel:WORD_1 src1_sel:DWORD
	s_waitcnt lgkmcnt(1)
	v_pk_fma_f16 v4, v31, v2, v48
	v_pk_fma_f16 v39, v32, v2, v39
	;; [unrolled: 1-line block ×4, first 2 shown]
	s_waitcnt lgkmcnt(0)
	v_pk_fma_f16 v49, v35, v2, v52
	v_pk_fma_f16 v50, v36, v2, v53
	;; [unrolled: 1-line block ×4, first 2 shown]
	ds_read2_b64 v[31:34], v3 offset1:32
	ds_read2_b64 v[35:38], v3 offset0:64 offset1:96
	v_mul_u32_u24_sdwa v2, v51, s26 dst_sel:DWORD dst_unused:UNUSED_PAD src0_sel:WORD_0 src1_sel:DWORD
	v_mul_u32_u24_sdwa v51, v51, s26 dst_sel:DWORD dst_unused:UNUSED_PAD src0_sel:WORD_1 src1_sel:DWORD
	s_waitcnt lgkmcnt(1)
	v_pk_fma_f16 v31, v31, v2, v4
	v_pk_fma_f16 v39, v32, v2, v39
	;; [unrolled: 1-line block ×4, first 2 shown]
	s_waitcnt lgkmcnt(0)
	v_pk_fma_f16 v49, v35, v2, v49
	v_pk_fma_f16 v36, v36, v2, v50
	;; [unrolled: 1-line block ×4, first 2 shown]
	ds_read2_b64 v[32:35], v3 offset0:128 offset1:160
	ds_read2_b64 v[1:4], v3 offset0:192 offset1:224
	s_waitcnt lgkmcnt(0)
	s_barrier
	s_load_dword s8, s[0:1], 0x4
	v_pk_fma_f16 v32, v32, v51, v31
	v_pk_fma_f16 v33, v33, v51, v39
	v_pk_fma_f16 v37, v34, v51, v40
	v_pk_fma_f16 v38, v35, v51, v48
	s_waitcnt lgkmcnt(0)
	s_lshl_b32 s8, s8, 6
	s_add_i32 s6, s8, s6
	v_pk_fma_f16 v35, v1, v51, v49
	v_pk_fma_f16 v36, v2, v51, v36
	;; [unrolled: 1-line block ×4, first 2 shown]
	s_cmp_ge_i32 s6, s28
	s_cbranch_scc1 .LBB27_9
; %bb.26:                               ;   in Loop: Header=BB27_17 Depth=1
	v_mov_b32_e32 v40, v10
	v_mov_b32_e32 v39, v47
	s_branch .LBB27_17
	.section	.rodata,"a",@progbits
	.p2align	6, 0x0
	.amdhsa_kernel _ZL15flash_attn_tileILi576ELi512ELi2ELi4ELb1EEvPKcS1_S1_S1_S1_PKiPfP15HIP_vector_typeIfLj2EEffffjfiS5_IjLj3EEiiiiiiiiiiiliiliiiiil
		.amdhsa_group_segment_fixed_size 19456
		.amdhsa_private_segment_fixed_size 0
		.amdhsa_kernarg_size 464
		.amdhsa_user_sgpr_count 6
		.amdhsa_user_sgpr_private_segment_buffer 1
		.amdhsa_user_sgpr_dispatch_ptr 0
		.amdhsa_user_sgpr_queue_ptr 0
		.amdhsa_user_sgpr_kernarg_segment_ptr 1
		.amdhsa_user_sgpr_dispatch_id 0
		.amdhsa_user_sgpr_flat_scratch_init 0
		.amdhsa_user_sgpr_private_segment_size 0
		.amdhsa_uses_dynamic_stack 0
		.amdhsa_system_sgpr_private_segment_wavefront_offset 0
		.amdhsa_system_sgpr_workgroup_id_x 1
		.amdhsa_system_sgpr_workgroup_id_y 1
		.amdhsa_system_sgpr_workgroup_id_z 1
		.amdhsa_system_sgpr_workgroup_info 0
		.amdhsa_system_vgpr_workitem_id 1
		.amdhsa_next_free_vgpr 65
		.amdhsa_next_free_sgpr 98
		.amdhsa_reserve_vcc 1
		.amdhsa_reserve_flat_scratch 0
		.amdhsa_float_round_mode_32 0
		.amdhsa_float_round_mode_16_64 0
		.amdhsa_float_denorm_mode_32 3
		.amdhsa_float_denorm_mode_16_64 3
		.amdhsa_dx10_clamp 1
		.amdhsa_ieee_mode 1
		.amdhsa_fp16_overflow 0
		.amdhsa_exception_fp_ieee_invalid_op 0
		.amdhsa_exception_fp_denorm_src 0
		.amdhsa_exception_fp_ieee_div_zero 0
		.amdhsa_exception_fp_ieee_overflow 0
		.amdhsa_exception_fp_ieee_underflow 0
		.amdhsa_exception_fp_ieee_inexact 0
		.amdhsa_exception_int_div_zero 0
	.end_amdhsa_kernel
	.section	.text._ZL15flash_attn_tileILi576ELi512ELi2ELi4ELb1EEvPKcS1_S1_S1_S1_PKiPfP15HIP_vector_typeIfLj2EEffffjfiS5_IjLj3EEiiiiiiiiiiiliiliiiiil,"axG",@progbits,_ZL15flash_attn_tileILi576ELi512ELi2ELi4ELb1EEvPKcS1_S1_S1_S1_PKiPfP15HIP_vector_typeIfLj2EEffffjfiS5_IjLj3EEiiiiiiiiiiiliiliiiiil,comdat
.Lfunc_end27:
	.size	_ZL15flash_attn_tileILi576ELi512ELi2ELi4ELb1EEvPKcS1_S1_S1_S1_PKiPfP15HIP_vector_typeIfLj2EEffffjfiS5_IjLj3EEiiiiiiiiiiiliiliiiiil, .Lfunc_end27-_ZL15flash_attn_tileILi576ELi512ELi2ELi4ELb1EEvPKcS1_S1_S1_S1_PKiPfP15HIP_vector_typeIfLj2EEffffjfiS5_IjLj3EEiiiiiiiiiiiliiliiiiil
                                        ; -- End function
	.set _ZL15flash_attn_tileILi576ELi512ELi2ELi4ELb1EEvPKcS1_S1_S1_S1_PKiPfP15HIP_vector_typeIfLj2EEffffjfiS5_IjLj3EEiiiiiiiiiiiliiliiiiil.num_vgpr, 58
	.set _ZL15flash_attn_tileILi576ELi512ELi2ELi4ELb1EEvPKcS1_S1_S1_S1_PKiPfP15HIP_vector_typeIfLj2EEffffjfiS5_IjLj3EEiiiiiiiiiiiliiliiiiil.num_agpr, 0
	.set _ZL15flash_attn_tileILi576ELi512ELi2ELi4ELb1EEvPKcS1_S1_S1_S1_PKiPfP15HIP_vector_typeIfLj2EEffffjfiS5_IjLj3EEiiiiiiiiiiiliiliiiiil.numbered_sgpr, 40
	.set _ZL15flash_attn_tileILi576ELi512ELi2ELi4ELb1EEvPKcS1_S1_S1_S1_PKiPfP15HIP_vector_typeIfLj2EEffffjfiS5_IjLj3EEiiiiiiiiiiiliiliiiiil.num_named_barrier, 0
	.set _ZL15flash_attn_tileILi576ELi512ELi2ELi4ELb1EEvPKcS1_S1_S1_S1_PKiPfP15HIP_vector_typeIfLj2EEffffjfiS5_IjLj3EEiiiiiiiiiiiliiliiiiil.private_seg_size, 0
	.set _ZL15flash_attn_tileILi576ELi512ELi2ELi4ELb1EEvPKcS1_S1_S1_S1_PKiPfP15HIP_vector_typeIfLj2EEffffjfiS5_IjLj3EEiiiiiiiiiiiliiliiiiil.uses_vcc, 1
	.set _ZL15flash_attn_tileILi576ELi512ELi2ELi4ELb1EEvPKcS1_S1_S1_S1_PKiPfP15HIP_vector_typeIfLj2EEffffjfiS5_IjLj3EEiiiiiiiiiiiliiliiiiil.uses_flat_scratch, 0
	.set _ZL15flash_attn_tileILi576ELi512ELi2ELi4ELb1EEvPKcS1_S1_S1_S1_PKiPfP15HIP_vector_typeIfLj2EEffffjfiS5_IjLj3EEiiiiiiiiiiiliiliiiiil.has_dyn_sized_stack, 0
	.set _ZL15flash_attn_tileILi576ELi512ELi2ELi4ELb1EEvPKcS1_S1_S1_S1_PKiPfP15HIP_vector_typeIfLj2EEffffjfiS5_IjLj3EEiiiiiiiiiiiliiliiiiil.has_recursion, 0
	.set _ZL15flash_attn_tileILi576ELi512ELi2ELi4ELb1EEvPKcS1_S1_S1_S1_PKiPfP15HIP_vector_typeIfLj2EEffffjfiS5_IjLj3EEiiiiiiiiiiiliiliiiiil.has_indirect_call, 0
	.section	.AMDGPU.csdata,"",@progbits
; Kernel info:
; codeLenInByte = 18212
; TotalNumSgprs: 44
; NumVgprs: 58
; ScratchSize: 0
; MemoryBound: 0
; FloatMode: 240
; IeeeMode: 1
; LDSByteSize: 19456 bytes/workgroup (compile time only)
; SGPRBlocks: 12
; VGPRBlocks: 16
; NumSGPRsForWavesPerEU: 102
; NumVGPRsForWavesPerEU: 65
; Occupancy: 3
; WaveLimiterHint : 1
; COMPUTE_PGM_RSRC2:SCRATCH_EN: 0
; COMPUTE_PGM_RSRC2:USER_SGPR: 6
; COMPUTE_PGM_RSRC2:TRAP_HANDLER: 0
; COMPUTE_PGM_RSRC2:TGID_X_EN: 1
; COMPUTE_PGM_RSRC2:TGID_Y_EN: 1
; COMPUTE_PGM_RSRC2:TGID_Z_EN: 1
; COMPUTE_PGM_RSRC2:TIDIG_COMP_CNT: 1
	.section	.text._ZL15flash_attn_tileILi576ELi512ELi1ELi4ELb1EEvPKcS1_S1_S1_S1_PKiPfP15HIP_vector_typeIfLj2EEffffjfiS5_IjLj3EEiiiiiiiiiiiliiliiiiil,"axG",@progbits,_ZL15flash_attn_tileILi576ELi512ELi1ELi4ELb1EEvPKcS1_S1_S1_S1_PKiPfP15HIP_vector_typeIfLj2EEffffjfiS5_IjLj3EEiiiiiiiiiiiliiliiiiil,comdat
	.globl	_ZL15flash_attn_tileILi576ELi512ELi1ELi4ELb1EEvPKcS1_S1_S1_S1_PKiPfP15HIP_vector_typeIfLj2EEffffjfiS5_IjLj3EEiiiiiiiiiiiliiliiiiil ; -- Begin function _ZL15flash_attn_tileILi576ELi512ELi1ELi4ELb1EEvPKcS1_S1_S1_S1_PKiPfP15HIP_vector_typeIfLj2EEffffjfiS5_IjLj3EEiiiiiiiiiiiliiliiiiil
	.p2align	8
	.type	_ZL15flash_attn_tileILi576ELi512ELi1ELi4ELb1EEvPKcS1_S1_S1_S1_PKiPfP15HIP_vector_typeIfLj2EEffffjfiS5_IjLj3EEiiiiiiiiiiiliiliiiiil,@function
_ZL15flash_attn_tileILi576ELi512ELi1ELi4ELb1EEvPKcS1_S1_S1_S1_PKiPfP15HIP_vector_typeIfLj2EEffffjfiS5_IjLj3EEiiiiiiiiiiiliiliiiiil: ; @_ZL15flash_attn_tileILi576ELi512ELi1ELi4ELb1EEvPKcS1_S1_S1_S1_PKiPfP15HIP_vector_typeIfLj2EEffffjfiS5_IjLj3EEiiiiiiiiiiiliiliiiiil
; %bb.0:
	s_load_dwordx4 s[0:3], s[4:5], 0x5c
	s_load_dwordx2 s[28:29], s[4:5], 0x80
	s_load_dwordx2 s[34:35], s[4:5], 0xb8
	s_mov_b64 s[30:31], 0
	s_waitcnt lgkmcnt(0)
	s_ashr_i32 s9, s3, 31
	s_lshr_b32 s9, s9, 30
	s_add_i32 s9, s3, s9
	s_ashr_i32 s9, s9, 2
	v_cvt_f32_u32_e32 v2, s9
	s_sub_i32 s10, 0, s9
	v_rcp_iflag_f32_e32 v2, v2
	v_mul_f32_e32 v2, 0x4f7ffffe, v2
	v_cvt_u32_f32_e32 v2, v2
	v_readfirstlane_b32 s11, v2
	s_mul_i32 s10, s10, s11
	s_mul_hi_u32 s10, s11, s10
	s_add_i32 s11, s11, s10
	s_mul_hi_u32 s10, s8, s11
	s_mul_i32 s11, s10, s9
	s_sub_i32 s11, s8, s11
	s_add_i32 s12, s10, 1
	s_sub_i32 s13, s11, s9
	s_cmp_ge_u32 s11, s9
	s_cselect_b32 s10, s12, s10
	s_cselect_b32 s11, s13, s11
	s_add_i32 s12, s10, 1
	s_cmp_ge_u32 s11, s9
	s_cselect_b32 s33, s12, s10
	s_abs_i32 s9, s29
	v_cvt_f32_u32_e32 v2, s9
	s_lshl_b32 s8, s8, 2
	s_mul_i32 s12, s33, s3
	s_xor_b32 s10, s3, s29
	v_rcp_iflag_f32_e32 v2, v2
	s_sub_i32 s13, 0, s9
	s_sub_i32 s29, s8, s12
	s_abs_i32 s11, s3
	v_mul_f32_e32 v2, 0x4f7ffffe, v2
	v_cvt_u32_f32_e32 v2, v2
	s_ashr_i32 s10, s10, 31
	v_readfirstlane_b32 s8, v2
	s_mul_i32 s13, s13, s8
	s_mul_hi_u32 s12, s8, s13
	s_add_i32 s8, s8, s12
	s_mul_hi_u32 s8, s11, s8
	s_mul_i32 s12, s8, s9
	s_sub_i32 s11, s11, s12
	s_add_i32 s13, s8, 1
	s_sub_i32 s12, s11, s9
	s_cmp_ge_u32 s11, s9
	s_cselect_b32 s8, s13, s8
	s_cselect_b32 s11, s12, s11
	s_add_i32 s12, s8, 1
	s_cmp_ge_u32 s11, s9
	s_cselect_b32 s8, s12, s8
	s_xor_b32 s8, s8, s10
	s_sub_i32 s37, s8, s10
	s_abs_i32 s36, s37
	v_cvt_f32_u32_e32 v2, s36
	s_load_dwordx16 s[8:23], s[4:5], 0x0
	v_rcp_iflag_f32_e32 v2, v2
	s_waitcnt lgkmcnt(0)
	s_cmp_eq_u64 s[14:15], 0
	v_mul_f32_e32 v2, 0x4f7ffffe, v2
	v_cvt_u32_f32_e32 v2, v2
	v_readfirstlane_b32 s38, v2
	s_cbranch_scc1 .LBB28_2
; %bb.1:
	s_abs_i32 s26, s34
	v_cvt_f32_u32_e32 v2, s26
	s_sub_i32 s31, 0, s26
	s_abs_i32 s30, s33
	s_ashr_i32 s27, s33, 31
	v_rcp_iflag_f32_e32 v2, v2
	s_load_dwordx2 s[24:25], s[4:5], 0xc8
	v_mul_f32_e32 v2, 0x4f7ffffe, v2
	v_cvt_u32_f32_e32 v2, v2
	v_readfirstlane_b32 s34, v2
	s_mul_i32 s31, s31, s34
	s_mul_hi_u32 s31, s34, s31
	s_add_i32 s34, s34, s31
	s_mul_hi_u32 s31, s30, s34
	s_mul_i32 s31, s31, s26
	s_sub_i32 s30, s30, s31
	s_sub_i32 s31, s30, s26
	s_cmp_ge_u32 s30, s26
	s_cselect_b32 s30, s31, s30
	s_sub_i32 s31, s30, s26
	s_cmp_ge_u32 s30, s26
	s_cselect_b32 s26, s31, s30
	s_xor_b32 s26, s26, s27
	s_sub_i32 s26, s26, s27
	s_ashr_i32 s27, s26, 31
	s_waitcnt lgkmcnt(0)
	s_mul_hi_u32 s30, s24, s26
	s_mul_i32 s27, s24, s27
	s_mul_i32 s25, s25, s26
	s_add_i32 s27, s30, s27
	s_add_i32 s27, s27, s25
	s_mul_i32 s24, s24, s26
	s_add_u32 s30, s14, s24
	s_addc_u32 s31, s15, s27
.LBB28_2:
	s_load_dwordx4 s[24:27], s[4:5], 0x70
	v_lshrrev_b32_e32 v2, 2, v1
	v_add_u32_e32 v23, s6, v2
	v_mul_hi_u32 v4, s0, v23
	v_and_b32_e32 v24, 3, v1
	s_waitcnt lgkmcnt(0)
	s_mul_i32 s14, s33, s26
	s_ashr_i32 s26, s14, 31
	s_mul_i32 s15, s29, s25
	s_add_u32 s8, s8, s14
	v_add_u32_e32 v4, v23, v4
	s_addc_u32 s9, s9, s26
	s_ashr_i32 s14, s15, 31
	v_lshrrev_b32_e32 v4, s1, v4
	s_add_u32 s26, s8, s15
	v_mul_lo_u32 v4, v4, s2
	s_addc_u32 s27, s9, s14
	s_ashr_i32 s9, s25, 31
	s_mov_b32 s8, s25
	s_lshr_b64 s[14:15], s[8:9], 2
	v_mad_u64_u32 v[2:3], s[14:15], s14, v24, 0
	s_ashr_i32 s25, s24, 31
	v_sub_u32_e32 v4, v23, v4
	s_lshr_b64 s[0:1], s[24:25], 2
	v_mad_u64_u32 v[5:6], s[0:1], s0, v4, 0
	s_lshr_b32 s0, s9, 2
	v_mad_u64_u32 v[7:8], s[0:1], s0, v24, v[3:4]
	v_mov_b32_e32 v3, v6
	s_lshr_b32 s0, s25, 2
	v_mad_u64_u32 v[8:9], s[0:1], s0, v4, v[3:4]
	v_mov_b32_e32 v3, v7
	v_lshlrev_b64 v[2:3], 2, v[2:3]
	v_mov_b32_e32 v6, v8
	v_mov_b32_e32 v7, s27
	v_add_co_u32_e32 v8, vcc, s26, v2
	v_addc_co_u32_e32 v7, vcc, v7, v3, vcc
	v_lshlrev_b64 v[2:3], 2, v[5:6]
	v_lshlrev_b32_e32 v5, 4, v0
	v_add_co_u32_e32 v2, vcc, v8, v2
	v_addc_co_u32_e32 v3, vcc, v7, v3, vcc
	v_add_co_u32_e32 v2, vcc, v2, v5
	v_addc_co_u32_e32 v3, vcc, 0, v3, vcc
	global_load_dwordx4 v[6:9], v[2:3], off
	global_load_dwordx4 v[10:13], v[2:3], off offset:512
	global_load_dwordx4 v[14:17], v[2:3], off offset:1024
	;; [unrolled: 1-line block ×3, first 2 shown]
	s_load_dword s8, s[4:5], 0x40
	s_movk_i32 s0, 0x480
	v_mov_b32_e32 v5, 0x2400
	v_lshlrev_b32_e32 v26, 3, v0
	v_mad_u32_u24 v27, v1, s0, v5
	v_add_u32_e32 v5, v27, v26
	v_cmp_gt_u32_e32 vcc, 16, v0
	s_waitcnt vmcnt(3) lgkmcnt(0)
	v_fma_mixlo_f16 v6, s8, v6, 0
	v_fma_mixlo_f16 v7, s8, v7, 0
	v_fma_mixlo_f16 v8, s8, v8, 0
	v_fma_mixlo_f16 v9, s8, v9, 0
	s_waitcnt vmcnt(2)
	v_fma_mixlo_f16 v10, s8, v10, 0
	v_fma_mixlo_f16 v11, s8, v11, 0
	;; [unrolled: 1-line block ×4, first 2 shown]
	s_waitcnt vmcnt(1)
	v_fma_mixlo_f16 v14, s8, v14, 0
	v_fma_mixlo_f16 v15, s8, v15, 0
	s_waitcnt vmcnt(0)
	v_fma_mixlo_f16 v18, s8, v18, 0
	v_fma_mixlo_f16 v19, s8, v19, 0
	v_lshlrev_b32_e32 v7, 16, v7
	v_and_b32_e32 v6, 0xffff, v6
	v_lshlrev_b32_e32 v9, 16, v9
	v_and_b32_e32 v8, 0xffff, v8
	;; [unrolled: 2-line block ×3, first 2 shown]
	v_fma_mixlo_f16 v16, s8, v16, 0
	v_fma_mixlo_f16 v17, s8, v17, 0
	v_fma_mixlo_f16 v20, s8, v20, 0
	v_fma_mixlo_f16 v21, s8, v21, 0
	v_lshlrev_b32_e32 v13, 16, v13
	v_and_b32_e32 v12, 0xffff, v12
	v_lshlrev_b32_e32 v15, 16, v15
	v_and_b32_e32 v14, 0xffff, v14
	;; [unrolled: 2-line block ×3, first 2 shown]
	v_or_b32_e32 v6, v7, v6
	v_or3_b32 v7, v9, v8, 0
	v_or_b32_e32 v8, v11, v10
	v_lshlrev_b32_e32 v17, 16, v17
	v_and_b32_e32 v16, 0xffff, v16
	v_lshlrev_b32_e32 v21, 16, v21
	v_and_b32_e32 v20, 0xffff, v20
	v_or3_b32 v9, v13, v12, 0
	v_or_b32_e32 v10, v15, v14
	v_or_b32_e32 v12, v19, v18
	v_or3_b32 v6, 0, 0, v6
	v_or3_b32 v8, 0, 0, v8
	;; [unrolled: 1-line block ×6, first 2 shown]
	ds_write2_b64 v5, v[6:7], v[8:9] offset1:32
	ds_write2_b64 v5, v[10:11], v[12:13] offset0:64 offset1:96
	s_and_saveexec_b64 s[0:1], vcc
	s_cbranch_execz .LBB28_4
; %bb.3:
	global_load_dwordx4 v[6:9], v[2:3], off offset:2048
	s_waitcnt vmcnt(0)
	v_fma_mixlo_f16 v2, s8, v6, 0
	v_fma_mixlo_f16 v3, s8, v7, 0
	;; [unrolled: 1-line block ×4, first 2 shown]
	v_lshlrev_b32_e32 v3, 16, v3
	v_and_b32_e32 v2, 0xffff, v2
	v_lshlrev_b32_e32 v7, 16, v7
	v_and_b32_e32 v6, 0xffff, v6
	v_or_b32_e32 v2, v3, v2
	v_or3_b32 v3, v7, v6, 0
	v_or3_b32 v2, 0, 0, v2
	ds_write_b64 v5, v[2:3] offset:1024
.LBB28_4:
	s_or_b64 exec, exec, s[0:1]
	s_cmp_eq_u64 s[18:19], 0
	s_waitcnt lgkmcnt(0)
	s_barrier
	s_cbranch_scc1 .LBB28_6
; %bb.5:
	s_load_dword s0, s[4:5], 0xd0
	s_mov_b32 s1, 0
	s_waitcnt lgkmcnt(0)
	s_mul_i32 s0, s0, s33
	s_add_i32 s0, s0, s6
	s_lshl_b64 s[0:1], s[0:1], 2
	s_add_u32 s0, s18, s0
	s_addc_u32 s1, s19, s1
	s_load_dword s28, s[0:1], 0x0
.LBB28_6:
	s_lshl_b32 s6, s7, 6
	v_lshlrev_b32_e32 v25, 2, v0
	s_waitcnt lgkmcnt(0)
	s_cmp_lt_i32 s6, s28
	v_mbcnt_lo_u32_b32 v15, -1, 0
	s_cbranch_scc1 .LBB28_14
; %bb.7:
	v_mbcnt_hi_u32_b32 v28, -1, v15
	v_and_b32_e32 v2, 0x60, v28
	v_add_u32_e32 v17, 32, v2
	v_xor_b32_e32 v22, 16, v28
	v_xor_b32_e32 v21, 8, v28
	v_xor_b32_e32 v20, 4, v28
	v_xor_b32_e32 v19, 2, v28
	v_xor_b32_e32 v18, 1, v28
	s_cbranch_execz .LBB28_15
; %bb.8:
	v_mov_b32_e32 v46, 0
	v_mov_b32_e32 v15, 0
	;; [unrolled: 1-line block ×10, first 2 shown]
.LBB28_9:
	v_cmp_lt_i32_e32 vcc, v22, v17
	v_cndmask_b32_e32 v2, v28, v22, vcc
	v_lshlrev_b32_e32 v2, 2, v2
	ds_bpermute_b32 v2, v2, v15
	v_cmp_lt_i32_e32 vcc, v21, v17
	v_cndmask_b32_e32 v3, v28, v21, vcc
	v_lshlrev_b32_e32 v3, 2, v3
	v_cmp_lt_i32_e32 vcc, v20, v17
	s_waitcnt lgkmcnt(0)
	v_add_f32_e32 v2, v15, v2
	ds_bpermute_b32 v3, v3, v2
	v_cndmask_b32_e32 v4, v28, v20, vcc
	v_lshlrev_b32_e32 v4, 2, v4
	v_cmp_lt_i32_e32 vcc, v19, v17
	s_cmp_lg_u64 s[16:17], 0
	s_waitcnt lgkmcnt(0)
	v_add_f32_e32 v2, v2, v3
	ds_bpermute_b32 v3, v4, v2
	v_cndmask_b32_e32 v4, v28, v19, vcc
	v_lshlrev_b32_e32 v4, 2, v4
	v_cmp_lt_i32_e32 vcc, v18, v17
	v_cndmask_b32_e32 v5, v28, v18, vcc
	s_waitcnt lgkmcnt(0)
	v_add_f32_e32 v2, v2, v3
	ds_bpermute_b32 v4, v4, v2
	v_lshlrev_b32_e32 v5, 2, v5
	s_cselect_b64 s[0:1], -1, 0
	s_cmp_eq_u32 s7, 0
	s_cselect_b64 s[8:9], -1, 0
	s_waitcnt lgkmcnt(0)
	v_add_f32_e32 v2, v2, v4
	ds_bpermute_b32 v4, v5, v2
	s_and_b64 s[0:1], s[8:9], s[0:1]
	v_add_u32_e32 v3, s29, v24
	s_and_b64 vcc, exec, s[0:1]
	s_waitcnt lgkmcnt(0)
	v_add_f32_e32 v2, v2, v4
	s_cbranch_vccz .LBB28_11
; %bb.10:
	v_ashrrev_i32_e32 v4, 31, v3
	v_lshlrev_b64 v[4:5], 2, v[3:4]
	v_mov_b32_e32 v6, s17
	v_add_co_u32_e32 v4, vcc, s16, v4
	v_addc_co_u32_e32 v5, vcc, v6, v5, vcc
	global_load_dword v4, v[4:5], off
	v_max_f32_e32 v5, v1, v1
	s_mov_b32 s0, 0x3fb8aa3b
	s_mov_b32 s1, 0xc2ce8ed0
	s_waitcnt vmcnt(0)
	v_max_f32_e32 v6, v4, v4
	v_max_f32_e32 v5, v5, v6
	v_sub_f32_e32 v1, v1, v5
	v_sub_f32_e32 v4, v4, v5
	v_mul_f32_e32 v6, 0x3fb8aa3b, v1
	v_mul_f32_e32 v7, 0x3fb8aa3b, v4
	v_fma_f32 v8, v1, s0, -v6
	v_rndne_f32_e32 v9, v6
	v_fma_f32 v10, v4, s0, -v7
	v_rndne_f32_e32 v11, v7
	v_fmac_f32_e32 v8, 0x32a5705f, v1
	v_sub_f32_e32 v6, v6, v9
	v_fmac_f32_e32 v10, 0x32a5705f, v4
	v_sub_f32_e32 v7, v7, v11
	v_add_f32_e32 v6, v6, v8
	v_cvt_i32_f32_e32 v9, v9
	v_add_f32_e32 v7, v7, v10
	v_exp_f32_e32 v6, v6
	v_cvt_i32_f32_e32 v11, v11
	v_exp_f32_e32 v7, v7
	v_cmp_ngt_f32_e32 vcc, s1, v1
	v_ldexp_f32 v6, v6, v9
	s_mov_b32 s0, 0x42b17218
	v_ldexp_f32 v7, v7, v11
	v_cndmask_b32_e32 v6, 0, v6, vcc
	v_cmp_ngt_f32_e32 vcc, s1, v4
	v_mov_b32_e32 v8, 0x7f800000
	v_cndmask_b32_e32 v7, 0, v7, vcc
	v_cmp_nlt_f32_e32 vcc, s0, v1
	v_cndmask_b32_e32 v1, v8, v6, vcc
	v_cvt_f16_f32_e32 v6, v1
	v_cmp_nlt_f32_e32 vcc, s0, v4
	v_cndmask_b32_e32 v4, v8, v7, vcc
	v_fmac_f32_e32 v4, v2, v1
	v_mul_u32_u24_e32 v1, 0x10001, v6
	v_mov_b32_e32 v2, v4
	v_pk_mul_f16 v46, v46, v1
	v_pk_mul_f16 v47, v47, v1
	;; [unrolled: 1-line block ×8, first 2 shown]
	v_mov_b32_e32 v1, v5
.LBB28_11:
	v_div_scale_f32 v4, s[0:1], v2, v2, 1.0
	v_div_scale_f32 v5, vcc, 1.0, v2, 1.0
	s_mul_i32 s33, s33, s2
	s_load_dword s4, s[4:5], 0xd4
	v_add_u32_e32 v8, s33, v23
	v_mov_b32_e32 v9, 0
	v_cmp_eq_u32_e64 s[0:1], 0, v0
	v_cvt_f32_f16_sdwa v0, v47 dst_sel:DWORD dst_unused:UNUSED_PAD src0_sel:WORD_1
	v_cvt_f32_f16_e32 v6, v47
	v_cvt_f32_f16_sdwa v12, v46 dst_sel:DWORD dst_unused:UNUSED_PAD src0_sel:WORD_1
	v_cvt_f32_f16_e32 v13, v46
	s_waitcnt lgkmcnt(0)
	s_cmp_lg_u32 s4, 1
	v_cvt_f32_f16_sdwa v14, v53 dst_sel:DWORD dst_unused:UNUSED_PAD src0_sel:WORD_1
	v_cvt_f32_f16_e32 v15, v53
	v_rcp_f32_e32 v7, v4
	v_cvt_f32_f16_sdwa v16, v52 dst_sel:DWORD dst_unused:UNUSED_PAD src0_sel:WORD_1
	v_cvt_f32_f16_e32 v17, v52
	v_fma_f32 v10, -v4, v7, 1.0
	v_fmac_f32_e32 v7, v10, v7
	v_mul_f32_e32 v10, v5, v7
	v_fma_f32 v11, -v4, v10, v5
	v_fmac_f32_e32 v10, v11, v7
	v_fma_f32 v4, -v4, v10, v5
	v_div_fmas_f32 v7, v4, v7, v10
	v_mad_u64_u32 v[3:4], s[2:3], v8, s3, v[3:4]
	s_cselect_b64 s[2:3], -1, 0
	v_mov_b32_e32 v11, s21
	v_mul_lo_u32 v3, s4, v3
	s_and_b64 s[0:1], s[0:1], s[2:3]
	v_add_u32_e32 v3, s7, v3
	v_lshl_or_b32 v8, v3, 9, v25
	v_lshlrev_b64 v[4:5], 2, v[8:9]
	v_add_co_u32_e32 v10, vcc, s20, v4
	v_addc_co_u32_e32 v11, vcc, v11, v5, vcc
	v_div_fixup_f32 v4, v7, v2, 1.0
	v_cndmask_b32_e64 v18, v4, 1.0, s[2:3]
	v_mul_f32_e32 v7, v18, v0
	v_mul_f32_e32 v6, v18, v6
	;; [unrolled: 1-line block ×4, first 2 shown]
	global_store_dwordx4 v[10:11], v[4:7], off
	v_add_u32_e32 v10, 0x80, v8
	v_mov_b32_e32 v11, v9
	v_lshlrev_b64 v[10:11], 2, v[10:11]
	v_mov_b32_e32 v0, s21
	v_add_co_u32_e32 v10, vcc, s20, v10
	v_mul_f32_e32 v7, v18, v14
	v_mul_f32_e32 v6, v18, v15
	;; [unrolled: 1-line block ×4, first 2 shown]
	v_addc_co_u32_e32 v11, vcc, v0, v11, vcc
	global_store_dwordx4 v[10:11], v[4:7], off
	v_cvt_f32_f16_e32 v10, v50
	v_cvt_f32_f16_e32 v4, v51
	v_cvt_f32_f16_sdwa v0, v51 dst_sel:DWORD dst_unused:UNUSED_PAD src0_sel:WORD_1
	v_cvt_f32_f16_sdwa v5, v50 dst_sel:DWORD dst_unused:UNUSED_PAD src0_sel:WORD_1
	v_mov_b32_e32 v11, v9
	v_mul_f32_e32 v6, v18, v4
	v_mul_f32_e32 v4, v18, v10
	v_add_u32_e32 v10, 0x100, v8
	v_lshlrev_b64 v[10:11], 2, v[10:11]
	v_mul_f32_e32 v7, v18, v0
	v_mov_b32_e32 v0, s21
	v_add_co_u32_e32 v10, vcc, s20, v10
	v_mul_f32_e32 v5, v18, v5
	v_addc_co_u32_e32 v11, vcc, v0, v11, vcc
	v_cvt_f32_f16_sdwa v0, v48 dst_sel:DWORD dst_unused:UNUSED_PAD src0_sel:WORD_1
	global_store_dwordx4 v[10:11], v[4:7], off
	v_cvt_f32_f16_e32 v10, v49
	v_cvt_f32_f16_e32 v4, v48
	v_cvt_f32_f16_sdwa v5, v49 dst_sel:DWORD dst_unused:UNUSED_PAD src0_sel:WORD_1
	v_add_u32_e32 v8, 0x180, v8
	v_lshlrev_b64 v[8:9], 2, v[8:9]
	v_mul_f32_e32 v7, v18, v0
	v_mov_b32_e32 v0, s21
	v_add_co_u32_e32 v8, vcc, s20, v8
	v_mul_f32_e32 v6, v18, v4
	v_mul_f32_e32 v5, v18, v5
	;; [unrolled: 1-line block ×3, first 2 shown]
	v_addc_co_u32_e32 v9, vcc, v0, v9, vcc
	global_store_dwordx4 v[8:9], v[4:7], off
	s_and_saveexec_b64 s[2:3], s[0:1]
	s_cbranch_execz .LBB28_13
; %bb.12:
	v_ashrrev_i32_e32 v4, 31, v3
	v_lshlrev_b64 v[3:4], 3, v[3:4]
	v_mov_b32_e32 v0, s23
	v_add_co_u32_e32 v3, vcc, s22, v3
	v_addc_co_u32_e32 v4, vcc, v0, v4, vcc
	global_store_dwordx2 v[3:4], v[1:2], off
.LBB28_13:
	s_endpgm
.LBB28_14:
                                        ; implicit-def: $vgpr28
                                        ; implicit-def: $vgpr17
                                        ; implicit-def: $vgpr22
                                        ; implicit-def: $vgpr21
                                        ; implicit-def: $vgpr20
                                        ; implicit-def: $vgpr19
                                        ; implicit-def: $vgpr18
.LBB28_15:
	s_sub_i32 s0, 0, s36
	s_mul_i32 s0, s0, s38
	s_mul_hi_u32 s0, s38, s0
	s_add_i32 s38, s38, s0
	s_load_dwordx4 s[24:27], s[4:5], 0x98
	s_load_dword s14, s[4:5], 0x54
	s_load_dwordx2 s[0:1], s[4:5], 0x8c
	s_abs_i32 s19, s29
	s_mul_hi_u32 s34, s19, s38
	s_waitcnt lgkmcnt(0)
	s_mul_hi_u32 s39, s24, s33
	s_mul_i32 s25, s25, s33
	s_ashr_i32 s18, s0, 2
	s_ashr_i32 s0, s33, 31
	s_mul_i32 s40, s24, s0
	s_add_i32 s39, s39, s40
	s_ashr_i32 s38, s29, 31
	s_ashr_i32 s37, s37, 31
	;; [unrolled: 1-line block ×4, first 2 shown]
	s_add_i32 s39, s39, s25
	s_mul_i32 s24, s24, s33
	s_add_u32 s10, s10, s24
	s_mul_i32 s25, s34, s36
	s_addc_u32 s11, s11, s39
	s_sub_i32 s19, s19, s25
	s_xor_b32 s24, s38, s37
	s_add_i32 s25, s34, 1
	s_sub_i32 s37, s19, s36
	s_cmp_ge_u32 s19, s36
	s_cselect_b32 s25, s25, s34
	s_cselect_b32 s19, s37, s19
	s_add_i32 s34, s25, 1
	s_cmp_ge_u32 s19, s36
	s_load_dwordx2 s[8:9], s[4:5], 0xa8
	s_cselect_b32 s19, s34, s25
	s_xor_b32 s19, s19, s24
	s_sub_i32 s19, s19, s24
	s_mul_i32 s1, s19, s1
	s_ashr_i32 s24, s1, 31
	s_add_u32 s10, s10, s1
	s_waitcnt lgkmcnt(0)
	s_mul_hi_u32 s1, s8, s33
	s_mul_i32 s0, s8, s0
	s_addc_u32 s11, s11, s24
	s_add_i32 s0, s1, s0
	s_mul_i32 s1, s9, s33
	s_add_i32 s0, s0, s1
	s_mul_i32 s1, s8, s33
	v_lshrrev_b32_e32 v2, 3, v0
	s_add_u32 s1, s12, s1
	s_mul_i32 s19, s19, s27
	v_lshl_add_u32 v2, v1, 2, v2
	s_addc_u32 s0, s13, s0
	s_ashr_i32 s8, s19, 31
	v_mul_lo_u32 v5, s18, v2
	s_add_u32 s12, s1, s19
	v_and_b32_e32 v18, 28, v25
	s_addc_u32 s13, s0, s8
	v_lshlrev_b32_e32 v3, 2, v18
	s_movk_i32 s0, 0x90
	v_mad_u32_u24 v29, v2, s0, v3
	s_lshl_b32 s0, s18, 4
	v_add_u32_e32 v7, s0, v5
	v_mul_lo_u32 v13, s15, v1
	v_add_u32_e32 v9, s0, v7
	v_add_u32_e32 v11, s0, v9
	v_mad_u64_u32 v[2:3], s[0:1], v4, s35, v[0:1]
	s_and_b32 s0, s26, -4
	v_add_u32_e32 v16, s0, v13
	v_ashrrev_i32_e32 v6, 31, v5
	v_ashrrev_i32_e32 v8, 31, v7
	;; [unrolled: 1-line block ×4, first 2 shown]
	v_mov_b32_e32 v3, 0x3600
	v_lshlrev_b32_e32 v36, 2, v25
	v_ashrrev_i32_e32 v14, 31, v13
	v_ashrrev_i32_e32 v17, 31, v16
	v_lshl_add_u32 v34, v1, 7, v3
	v_lshl_add_u32 v37, v1, 10, v36
	s_add_u32 s0, s4, 0xd0
	v_lshlrev_b64 v[3:4], 2, v[5:6]
	v_lshlrev_b64 v[5:6], 2, v[7:8]
	;; [unrolled: 1-line block ×6, first 2 shown]
	v_mov_b32_e32 v48, 0
	v_add_u32_e32 v30, 0x900, v29
	v_add_u32_e32 v31, 0x1200, v29
	;; [unrolled: 1-line block ×3, first 2 shown]
	v_mul_u32_u24_e32 v33, 0x90, v0
	v_lshl_add_u32 v35, v0, 1, v34
	v_add_u32_e32 v38, 0x200, v37
	v_add_u32_e32 v39, 0x1000, v37
	;; [unrolled: 1-line block ×3, first 2 shown]
	s_addc_u32 s1, s5, 0
	v_mov_b32_e32 v55, 0xfeffffff
	v_lshlrev_b32_e32 v41, 2, v18
	s_mov_b32 s19, 0x3f200000
	s_mov_b32 s24, 0x3fb8aa3b
	;; [unrolled: 1-line block ×4, first 2 shown]
	v_mov_b32_e32 v42, 0xbd5c1c4e
	v_mov_b32_e32 v43, 0x3e088382
	;; [unrolled: 1-line block ×3, first 2 shown]
	s_brev_b32 s27, -2
	s_mov_b32 s34, 0x10001
	v_mov_b32_e32 v45, 0x7f800000
	v_mbcnt_hi_u32_b32 v28, -1, v15
	v_mov_b32_e32 v49, 0
	v_mov_b32_e32 v51, 0
	;; [unrolled: 1-line block ×8, first 2 shown]
.LBB28_16:                              ; =>This Inner Loop Header: Depth=1
	s_mul_hi_i32 s9, s6, s18
	s_mul_i32 s8, s6, s18
	s_lshl_b64 s[8:9], s[8:9], 2
	s_add_u32 s8, s10, s8
	s_addc_u32 s9, s11, s9
	v_mov_b32_e32 v1, s9
	v_add_co_u32_e32 v15, vcc, s8, v3
	v_addc_co_u32_e32 v1, vcc, v1, v4, vcc
	v_add_co_u32_e32 v15, vcc, v15, v41
	v_addc_co_u32_e32 v16, vcc, 0, v1, vcc
	v_mov_b32_e32 v1, s9
	v_add_co_u32_e32 v17, vcc, s8, v5
	v_addc_co_u32_e32 v1, vcc, v1, v6, vcc
	v_add_co_u32_e32 v17, vcc, v17, v41
	v_addc_co_u32_e32 v18, vcc, 0, v1, vcc
	;; [unrolled: 5-line block ×3, first 2 shown]
	v_mov_b32_e32 v1, s9
	v_add_co_u32_e32 v21, vcc, s8, v9
	v_addc_co_u32_e32 v1, vcc, v1, v10, vcc
	v_add_co_u32_e32 v21, vcc, v21, v41
	global_load_dwordx4 v[56:59], v[15:16], off
	global_load_dwordx4 v[60:63], v[17:18], off
	v_addc_co_u32_e32 v22, vcc, 0, v1, vcc
	global_load_dwordx4 v[64:67], v[19:20], off
	global_load_dwordx4 v[68:71], v[21:22], off
	v_mov_b32_e32 v1, 0
	s_waitcnt vmcnt(3)
	ds_write_b128 v29, v[56:59]
	s_waitcnt vmcnt(2)
	ds_write_b128 v30, v[60:63]
	;; [unrolled: 2-line block ×4, first 2 shown]
	s_waitcnt lgkmcnt(0)
	s_barrier
	ds_read_b128 v[57:60], v33
	ds_read_b128 v[61:64], v27
	v_mov_b32_e32 v56, 0
	ds_read_b128 v[65:68], v33 offset:4608
	s_waitcnt lgkmcnt(1)
	;;#ASMSTART
	v_dot2_f32_f16 v56, v57, v61, v56
	;;#ASMEND
	;;#ASMSTART
	v_dot2_f32_f16 v56, v58, v62, v56
	;;#ASMEND
	;;#ASMSTART
	v_dot2_f32_f16 v56, v59, v63, v56
	;;#ASMEND
	;;#ASMSTART
	v_dot2_f32_f16 v56, v60, v64, v56
	;;#ASMEND
	s_waitcnt lgkmcnt(0)
	;;#ASMSTART
	v_dot2_f32_f16 v1, v65, v61, v1
	;;#ASMEND
	;;#ASMSTART
	v_dot2_f32_f16 v1, v66, v62, v1
	;;#ASMEND
	;;#ASMSTART
	v_dot2_f32_f16 v1, v67, v63, v1
	;;#ASMEND
	;;#ASMSTART
	v_dot2_f32_f16 v1, v68, v64, v1
	;;#ASMEND
	ds_read_b128 v[57:60], v33 offset:16
	ds_read_b128 v[61:64], v27 offset:16
	ds_read_b128 v[65:68], v33 offset:4624
	s_waitcnt lgkmcnt(1)
	;;#ASMSTART
	v_dot2_f32_f16 v56, v57, v61, v56
	;;#ASMEND
	;;#ASMSTART
	v_dot2_f32_f16 v56, v58, v62, v56
	;;#ASMEND
	;;#ASMSTART
	v_dot2_f32_f16 v56, v59, v63, v56
	;;#ASMEND
	;;#ASMSTART
	v_dot2_f32_f16 v56, v60, v64, v56
	;;#ASMEND
	s_waitcnt lgkmcnt(0)
	;;#ASMSTART
	v_dot2_f32_f16 v1, v65, v61, v1
	;;#ASMEND
	;;#ASMSTART
	v_dot2_f32_f16 v1, v66, v62, v1
	;;#ASMEND
	;;#ASMSTART
	v_dot2_f32_f16 v1, v67, v63, v1
	;;#ASMEND
	;;#ASMSTART
	v_dot2_f32_f16 v1, v68, v64, v1
	;;#ASMEND
	ds_read_b128 v[57:60], v33 offset:32
	ds_read_b128 v[61:64], v27 offset:32
	;; [unrolled: 29-line block ×7, first 2 shown]
	ds_read_b128 v[65:68], v33 offset:4720
	s_waitcnt lgkmcnt(1)
	;;#ASMSTART
	v_dot2_f32_f16 v56, v57, v61, v56
	;;#ASMEND
	;;#ASMSTART
	v_dot2_f32_f16 v56, v58, v62, v56
	;;#ASMEND
	;; [unrolled: 3-line block ×4, first 2 shown]
	s_waitcnt lgkmcnt(0)
	;;#ASMSTART
	v_dot2_f32_f16 v1, v65, v61, v1
	;;#ASMEND
	;;#ASMSTART
	v_dot2_f32_f16 v1, v66, v62, v1
	;;#ASMEND
	;; [unrolled: 3-line block ×4, first 2 shown]
	s_barrier
	global_load_dwordx4 v[57:60], v[15:16], off offset:128
	global_load_dwordx4 v[61:64], v[17:18], off offset:128
	;; [unrolled: 1-line block ×4, first 2 shown]
	s_waitcnt vmcnt(3)
	ds_write_b128 v29, v[57:60]
	s_waitcnt vmcnt(2)
	ds_write_b128 v30, v[61:64]
	;; [unrolled: 2-line block ×4, first 2 shown]
	s_waitcnt lgkmcnt(0)
	s_barrier
	ds_read_b128 v[57:60], v33
	ds_read_b128 v[61:64], v27 offset:128
	ds_read_b128 v[65:68], v33 offset:4608
	s_waitcnt lgkmcnt(1)
	;;#ASMSTART
	v_dot2_f32_f16 v56, v57, v61, v56
	;;#ASMEND
	;;#ASMSTART
	v_dot2_f32_f16 v56, v58, v62, v56
	;;#ASMEND
	;;#ASMSTART
	v_dot2_f32_f16 v56, v59, v63, v56
	;;#ASMEND
	;;#ASMSTART
	v_dot2_f32_f16 v56, v60, v64, v56
	;;#ASMEND
	s_waitcnt lgkmcnt(0)
	;;#ASMSTART
	v_dot2_f32_f16 v1, v65, v61, v1
	;;#ASMEND
	;;#ASMSTART
	v_dot2_f32_f16 v1, v66, v62, v1
	;;#ASMEND
	;;#ASMSTART
	v_dot2_f32_f16 v1, v67, v63, v1
	;;#ASMEND
	;;#ASMSTART
	v_dot2_f32_f16 v1, v68, v64, v1
	;;#ASMEND
	ds_read_b128 v[57:60], v33 offset:16
	ds_read_b128 v[61:64], v27 offset:144
	ds_read_b128 v[65:68], v33 offset:4624
	s_waitcnt lgkmcnt(1)
	;;#ASMSTART
	v_dot2_f32_f16 v56, v57, v61, v56
	;;#ASMEND
	;;#ASMSTART
	v_dot2_f32_f16 v56, v58, v62, v56
	;;#ASMEND
	;;#ASMSTART
	v_dot2_f32_f16 v56, v59, v63, v56
	;;#ASMEND
	;;#ASMSTART
	v_dot2_f32_f16 v56, v60, v64, v56
	;;#ASMEND
	s_waitcnt lgkmcnt(0)
	;;#ASMSTART
	v_dot2_f32_f16 v1, v65, v61, v1
	;;#ASMEND
	;;#ASMSTART
	v_dot2_f32_f16 v1, v66, v62, v1
	;;#ASMEND
	;;#ASMSTART
	v_dot2_f32_f16 v1, v67, v63, v1
	;;#ASMEND
	;;#ASMSTART
	v_dot2_f32_f16 v1, v68, v64, v1
	;;#ASMEND
	ds_read_b128 v[57:60], v33 offset:32
	;; [unrolled: 29-line block ×7, first 2 shown]
	ds_read_b128 v[61:64], v27 offset:240
	ds_read_b128 v[65:68], v33 offset:4720
	s_waitcnt lgkmcnt(1)
	;;#ASMSTART
	v_dot2_f32_f16 v56, v57, v61, v56
	;;#ASMEND
	;;#ASMSTART
	v_dot2_f32_f16 v56, v58, v62, v56
	;;#ASMEND
	;; [unrolled: 3-line block ×4, first 2 shown]
	s_waitcnt lgkmcnt(0)
	;;#ASMSTART
	v_dot2_f32_f16 v1, v65, v61, v1
	;;#ASMEND
	;;#ASMSTART
	v_dot2_f32_f16 v1, v66, v62, v1
	;;#ASMEND
	;; [unrolled: 3-line block ×4, first 2 shown]
	s_barrier
	global_load_dwordx4 v[57:60], v[15:16], off offset:256
	global_load_dwordx4 v[61:64], v[17:18], off offset:256
	;; [unrolled: 1-line block ×4, first 2 shown]
	s_waitcnt vmcnt(3)
	ds_write_b128 v29, v[57:60]
	s_waitcnt vmcnt(2)
	ds_write_b128 v30, v[61:64]
	;; [unrolled: 2-line block ×4, first 2 shown]
	s_waitcnt lgkmcnt(0)
	s_barrier
	ds_read_b128 v[57:60], v33
	ds_read_b128 v[61:64], v27 offset:256
	ds_read_b128 v[65:68], v33 offset:4608
	s_waitcnt lgkmcnt(1)
	;;#ASMSTART
	v_dot2_f32_f16 v56, v57, v61, v56
	;;#ASMEND
	;;#ASMSTART
	v_dot2_f32_f16 v56, v58, v62, v56
	;;#ASMEND
	;;#ASMSTART
	v_dot2_f32_f16 v56, v59, v63, v56
	;;#ASMEND
	;;#ASMSTART
	v_dot2_f32_f16 v56, v60, v64, v56
	;;#ASMEND
	s_waitcnt lgkmcnt(0)
	;;#ASMSTART
	v_dot2_f32_f16 v1, v65, v61, v1
	;;#ASMEND
	;;#ASMSTART
	v_dot2_f32_f16 v1, v66, v62, v1
	;;#ASMEND
	;;#ASMSTART
	v_dot2_f32_f16 v1, v67, v63, v1
	;;#ASMEND
	;;#ASMSTART
	v_dot2_f32_f16 v1, v68, v64, v1
	;;#ASMEND
	ds_read_b128 v[57:60], v33 offset:16
	ds_read_b128 v[61:64], v27 offset:272
	ds_read_b128 v[65:68], v33 offset:4624
	s_waitcnt lgkmcnt(1)
	;;#ASMSTART
	v_dot2_f32_f16 v56, v57, v61, v56
	;;#ASMEND
	;;#ASMSTART
	v_dot2_f32_f16 v56, v58, v62, v56
	;;#ASMEND
	;;#ASMSTART
	v_dot2_f32_f16 v56, v59, v63, v56
	;;#ASMEND
	;;#ASMSTART
	v_dot2_f32_f16 v56, v60, v64, v56
	;;#ASMEND
	s_waitcnt lgkmcnt(0)
	;;#ASMSTART
	v_dot2_f32_f16 v1, v65, v61, v1
	;;#ASMEND
	;;#ASMSTART
	v_dot2_f32_f16 v1, v66, v62, v1
	;;#ASMEND
	;;#ASMSTART
	v_dot2_f32_f16 v1, v67, v63, v1
	;;#ASMEND
	;;#ASMSTART
	v_dot2_f32_f16 v1, v68, v64, v1
	;;#ASMEND
	ds_read_b128 v[57:60], v33 offset:32
	;; [unrolled: 29-line block ×7, first 2 shown]
	ds_read_b128 v[61:64], v27 offset:368
	ds_read_b128 v[65:68], v33 offset:4720
	s_waitcnt lgkmcnt(1)
	;;#ASMSTART
	v_dot2_f32_f16 v56, v57, v61, v56
	;;#ASMEND
	;;#ASMSTART
	v_dot2_f32_f16 v56, v58, v62, v56
	;;#ASMEND
	;; [unrolled: 3-line block ×4, first 2 shown]
	s_waitcnt lgkmcnt(0)
	;;#ASMSTART
	v_dot2_f32_f16 v1, v65, v61, v1
	;;#ASMEND
	;;#ASMSTART
	v_dot2_f32_f16 v1, v66, v62, v1
	;;#ASMEND
	;; [unrolled: 3-line block ×4, first 2 shown]
	s_barrier
	global_load_dwordx4 v[57:60], v[15:16], off offset:384
	global_load_dwordx4 v[61:64], v[17:18], off offset:384
	;; [unrolled: 1-line block ×4, first 2 shown]
	s_waitcnt vmcnt(3)
	ds_write_b128 v29, v[57:60]
	s_waitcnt vmcnt(2)
	ds_write_b128 v30, v[61:64]
	;; [unrolled: 2-line block ×4, first 2 shown]
	s_waitcnt lgkmcnt(0)
	s_barrier
	ds_read_b128 v[57:60], v33
	ds_read_b128 v[61:64], v27 offset:384
	ds_read_b128 v[65:68], v33 offset:4608
	s_waitcnt lgkmcnt(1)
	;;#ASMSTART
	v_dot2_f32_f16 v56, v57, v61, v56
	;;#ASMEND
	;;#ASMSTART
	v_dot2_f32_f16 v56, v58, v62, v56
	;;#ASMEND
	;;#ASMSTART
	v_dot2_f32_f16 v56, v59, v63, v56
	;;#ASMEND
	;;#ASMSTART
	v_dot2_f32_f16 v56, v60, v64, v56
	;;#ASMEND
	s_waitcnt lgkmcnt(0)
	;;#ASMSTART
	v_dot2_f32_f16 v1, v65, v61, v1
	;;#ASMEND
	;;#ASMSTART
	v_dot2_f32_f16 v1, v66, v62, v1
	;;#ASMEND
	;;#ASMSTART
	v_dot2_f32_f16 v1, v67, v63, v1
	;;#ASMEND
	;;#ASMSTART
	v_dot2_f32_f16 v1, v68, v64, v1
	;;#ASMEND
	ds_read_b128 v[57:60], v33 offset:16
	ds_read_b128 v[61:64], v27 offset:400
	ds_read_b128 v[65:68], v33 offset:4624
	s_waitcnt lgkmcnt(1)
	;;#ASMSTART
	v_dot2_f32_f16 v56, v57, v61, v56
	;;#ASMEND
	;;#ASMSTART
	v_dot2_f32_f16 v56, v58, v62, v56
	;;#ASMEND
	;;#ASMSTART
	v_dot2_f32_f16 v56, v59, v63, v56
	;;#ASMEND
	;;#ASMSTART
	v_dot2_f32_f16 v56, v60, v64, v56
	;;#ASMEND
	s_waitcnt lgkmcnt(0)
	;;#ASMSTART
	v_dot2_f32_f16 v1, v65, v61, v1
	;;#ASMEND
	;;#ASMSTART
	v_dot2_f32_f16 v1, v66, v62, v1
	;;#ASMEND
	;;#ASMSTART
	v_dot2_f32_f16 v1, v67, v63, v1
	;;#ASMEND
	;;#ASMSTART
	v_dot2_f32_f16 v1, v68, v64, v1
	;;#ASMEND
	ds_read_b128 v[57:60], v33 offset:32
	;; [unrolled: 29-line block ×7, first 2 shown]
	ds_read_b128 v[61:64], v27 offset:496
	ds_read_b128 v[65:68], v33 offset:4720
	s_waitcnt lgkmcnt(1)
	;;#ASMSTART
	v_dot2_f32_f16 v56, v57, v61, v56
	;;#ASMEND
	;;#ASMSTART
	v_dot2_f32_f16 v56, v58, v62, v56
	;;#ASMEND
	;; [unrolled: 3-line block ×4, first 2 shown]
	s_waitcnt lgkmcnt(0)
	;;#ASMSTART
	v_dot2_f32_f16 v1, v65, v61, v1
	;;#ASMEND
	;;#ASMSTART
	v_dot2_f32_f16 v1, v66, v62, v1
	;;#ASMEND
	;; [unrolled: 3-line block ×4, first 2 shown]
	s_barrier
	global_load_dwordx4 v[57:60], v[15:16], off offset:512
	global_load_dwordx4 v[61:64], v[17:18], off offset:512
	;; [unrolled: 1-line block ×4, first 2 shown]
	s_waitcnt vmcnt(3)
	ds_write_b128 v29, v[57:60]
	s_waitcnt vmcnt(2)
	ds_write_b128 v30, v[61:64]
	;; [unrolled: 2-line block ×4, first 2 shown]
	s_waitcnt lgkmcnt(0)
	s_barrier
	ds_read_b128 v[57:60], v33
	ds_read_b128 v[61:64], v27 offset:512
	ds_read_b128 v[65:68], v33 offset:4608
	s_waitcnt lgkmcnt(1)
	;;#ASMSTART
	v_dot2_f32_f16 v56, v57, v61, v56
	;;#ASMEND
	;;#ASMSTART
	v_dot2_f32_f16 v56, v58, v62, v56
	;;#ASMEND
	;;#ASMSTART
	v_dot2_f32_f16 v56, v59, v63, v56
	;;#ASMEND
	;;#ASMSTART
	v_dot2_f32_f16 v56, v60, v64, v56
	;;#ASMEND
	s_waitcnt lgkmcnt(0)
	;;#ASMSTART
	v_dot2_f32_f16 v1, v65, v61, v1
	;;#ASMEND
	;;#ASMSTART
	v_dot2_f32_f16 v1, v66, v62, v1
	;;#ASMEND
	;;#ASMSTART
	v_dot2_f32_f16 v1, v67, v63, v1
	;;#ASMEND
	;;#ASMSTART
	v_dot2_f32_f16 v1, v68, v64, v1
	;;#ASMEND
	ds_read_b128 v[57:60], v33 offset:16
	ds_read_b128 v[61:64], v27 offset:528
	ds_read_b128 v[65:68], v33 offset:4624
	s_waitcnt lgkmcnt(1)
	;;#ASMSTART
	v_dot2_f32_f16 v56, v57, v61, v56
	;;#ASMEND
	;;#ASMSTART
	v_dot2_f32_f16 v56, v58, v62, v56
	;;#ASMEND
	;;#ASMSTART
	v_dot2_f32_f16 v56, v59, v63, v56
	;;#ASMEND
	;;#ASMSTART
	v_dot2_f32_f16 v56, v60, v64, v56
	;;#ASMEND
	s_waitcnt lgkmcnt(0)
	;;#ASMSTART
	v_dot2_f32_f16 v1, v65, v61, v1
	;;#ASMEND
	;;#ASMSTART
	v_dot2_f32_f16 v1, v66, v62, v1
	;;#ASMEND
	;;#ASMSTART
	v_dot2_f32_f16 v1, v67, v63, v1
	;;#ASMEND
	;;#ASMSTART
	v_dot2_f32_f16 v1, v68, v64, v1
	;;#ASMEND
	ds_read_b128 v[57:60], v33 offset:32
	;; [unrolled: 29-line block ×7, first 2 shown]
	ds_read_b128 v[61:64], v27 offset:624
	ds_read_b128 v[65:68], v33 offset:4720
	s_waitcnt lgkmcnt(1)
	;;#ASMSTART
	v_dot2_f32_f16 v56, v57, v61, v56
	;;#ASMEND
	;;#ASMSTART
	v_dot2_f32_f16 v56, v58, v62, v56
	;;#ASMEND
	;; [unrolled: 3-line block ×4, first 2 shown]
	s_waitcnt lgkmcnt(0)
	;;#ASMSTART
	v_dot2_f32_f16 v1, v65, v61, v1
	;;#ASMEND
	;;#ASMSTART
	v_dot2_f32_f16 v1, v66, v62, v1
	;;#ASMEND
	;; [unrolled: 3-line block ×4, first 2 shown]
	s_barrier
	global_load_dwordx4 v[57:60], v[15:16], off offset:640
	global_load_dwordx4 v[61:64], v[17:18], off offset:640
	;; [unrolled: 1-line block ×4, first 2 shown]
	s_waitcnt vmcnt(3)
	ds_write_b128 v29, v[57:60]
	s_waitcnt vmcnt(2)
	ds_write_b128 v30, v[61:64]
	s_waitcnt vmcnt(1)
	ds_write_b128 v31, v[65:68]
	s_waitcnt vmcnt(0)
	ds_write_b128 v32, v[69:72]
	s_waitcnt lgkmcnt(0)
	s_barrier
	ds_read_b128 v[57:60], v33
	ds_read_b128 v[61:64], v27 offset:640
	ds_read_b128 v[65:68], v33 offset:4608
	s_waitcnt lgkmcnt(1)
	;;#ASMSTART
	v_dot2_f32_f16 v56, v57, v61, v56
	;;#ASMEND
	;;#ASMSTART
	v_dot2_f32_f16 v56, v58, v62, v56
	;;#ASMEND
	;;#ASMSTART
	v_dot2_f32_f16 v56, v59, v63, v56
	;;#ASMEND
	;;#ASMSTART
	v_dot2_f32_f16 v56, v60, v64, v56
	;;#ASMEND
	s_waitcnt lgkmcnt(0)
	;;#ASMSTART
	v_dot2_f32_f16 v1, v65, v61, v1
	;;#ASMEND
	;;#ASMSTART
	v_dot2_f32_f16 v1, v66, v62, v1
	;;#ASMEND
	;;#ASMSTART
	v_dot2_f32_f16 v1, v67, v63, v1
	;;#ASMEND
	;;#ASMSTART
	v_dot2_f32_f16 v1, v68, v64, v1
	;;#ASMEND
	ds_read_b128 v[57:60], v33 offset:16
	ds_read_b128 v[61:64], v27 offset:656
	ds_read_b128 v[65:68], v33 offset:4624
	s_waitcnt lgkmcnt(1)
	;;#ASMSTART
	v_dot2_f32_f16 v56, v57, v61, v56
	;;#ASMEND
	;;#ASMSTART
	v_dot2_f32_f16 v56, v58, v62, v56
	;;#ASMEND
	;;#ASMSTART
	v_dot2_f32_f16 v56, v59, v63, v56
	;;#ASMEND
	;;#ASMSTART
	v_dot2_f32_f16 v56, v60, v64, v56
	;;#ASMEND
	s_waitcnt lgkmcnt(0)
	;;#ASMSTART
	v_dot2_f32_f16 v1, v65, v61, v1
	;;#ASMEND
	;;#ASMSTART
	v_dot2_f32_f16 v1, v66, v62, v1
	;;#ASMEND
	;;#ASMSTART
	v_dot2_f32_f16 v1, v67, v63, v1
	;;#ASMEND
	;;#ASMSTART
	v_dot2_f32_f16 v1, v68, v64, v1
	;;#ASMEND
	ds_read_b128 v[57:60], v33 offset:32
	;; [unrolled: 29-line block ×7, first 2 shown]
	ds_read_b128 v[61:64], v27 offset:752
	ds_read_b128 v[65:68], v33 offset:4720
	s_waitcnt lgkmcnt(1)
	;;#ASMSTART
	v_dot2_f32_f16 v56, v57, v61, v56
	;;#ASMEND
	;;#ASMSTART
	v_dot2_f32_f16 v56, v58, v62, v56
	;;#ASMEND
	;; [unrolled: 3-line block ×4, first 2 shown]
	s_waitcnt lgkmcnt(0)
	;;#ASMSTART
	v_dot2_f32_f16 v1, v65, v61, v1
	;;#ASMEND
	;;#ASMSTART
	v_dot2_f32_f16 v1, v66, v62, v1
	;;#ASMEND
	;;#ASMSTART
	v_dot2_f32_f16 v1, v67, v63, v1
	;;#ASMEND
	;;#ASMSTART
	v_dot2_f32_f16 v1, v68, v64, v1
	;;#ASMEND
	s_barrier
	global_load_dwordx4 v[57:60], v[15:16], off offset:768
	global_load_dwordx4 v[61:64], v[17:18], off offset:768
	;; [unrolled: 1-line block ×4, first 2 shown]
	s_waitcnt vmcnt(3)
	ds_write_b128 v29, v[57:60]
	s_waitcnt vmcnt(2)
	ds_write_b128 v30, v[61:64]
	s_waitcnt vmcnt(1)
	ds_write_b128 v31, v[65:68]
	s_waitcnt vmcnt(0)
	ds_write_b128 v32, v[69:72]
	s_waitcnt lgkmcnt(0)
	s_barrier
	ds_read_b128 v[57:60], v33
	ds_read_b128 v[61:64], v27 offset:768
	ds_read_b128 v[65:68], v33 offset:4608
	s_waitcnt lgkmcnt(1)
	;;#ASMSTART
	v_dot2_f32_f16 v56, v57, v61, v56
	;;#ASMEND
	;;#ASMSTART
	v_dot2_f32_f16 v56, v58, v62, v56
	;;#ASMEND
	;;#ASMSTART
	v_dot2_f32_f16 v56, v59, v63, v56
	;;#ASMEND
	;;#ASMSTART
	v_dot2_f32_f16 v56, v60, v64, v56
	;;#ASMEND
	s_waitcnt lgkmcnt(0)
	;;#ASMSTART
	v_dot2_f32_f16 v1, v65, v61, v1
	;;#ASMEND
	;;#ASMSTART
	v_dot2_f32_f16 v1, v66, v62, v1
	;;#ASMEND
	;;#ASMSTART
	v_dot2_f32_f16 v1, v67, v63, v1
	;;#ASMEND
	;;#ASMSTART
	v_dot2_f32_f16 v1, v68, v64, v1
	;;#ASMEND
	ds_read_b128 v[57:60], v33 offset:16
	ds_read_b128 v[61:64], v27 offset:784
	ds_read_b128 v[65:68], v33 offset:4624
	s_waitcnt lgkmcnt(1)
	;;#ASMSTART
	v_dot2_f32_f16 v56, v57, v61, v56
	;;#ASMEND
	;;#ASMSTART
	v_dot2_f32_f16 v56, v58, v62, v56
	;;#ASMEND
	;;#ASMSTART
	v_dot2_f32_f16 v56, v59, v63, v56
	;;#ASMEND
	;;#ASMSTART
	v_dot2_f32_f16 v56, v60, v64, v56
	;;#ASMEND
	s_waitcnt lgkmcnt(0)
	;;#ASMSTART
	v_dot2_f32_f16 v1, v65, v61, v1
	;;#ASMEND
	;;#ASMSTART
	v_dot2_f32_f16 v1, v66, v62, v1
	;;#ASMEND
	;;#ASMSTART
	v_dot2_f32_f16 v1, v67, v63, v1
	;;#ASMEND
	;;#ASMSTART
	v_dot2_f32_f16 v1, v68, v64, v1
	;;#ASMEND
	ds_read_b128 v[57:60], v33 offset:32
	;; [unrolled: 29-line block ×7, first 2 shown]
	ds_read_b128 v[61:64], v27 offset:880
	ds_read_b128 v[65:68], v33 offset:4720
	s_waitcnt lgkmcnt(1)
	;;#ASMSTART
	v_dot2_f32_f16 v56, v57, v61, v56
	;;#ASMEND
	;;#ASMSTART
	v_dot2_f32_f16 v56, v58, v62, v56
	;;#ASMEND
	;; [unrolled: 3-line block ×4, first 2 shown]
	s_waitcnt lgkmcnt(0)
	;;#ASMSTART
	v_dot2_f32_f16 v1, v65, v61, v1
	;;#ASMEND
	;;#ASMSTART
	v_dot2_f32_f16 v1, v66, v62, v1
	;;#ASMEND
	;; [unrolled: 3-line block ×4, first 2 shown]
	s_barrier
	global_load_dwordx4 v[57:60], v[15:16], off offset:896
	global_load_dwordx4 v[61:64], v[17:18], off offset:896
	;; [unrolled: 1-line block ×4, first 2 shown]
	s_waitcnt vmcnt(3)
	ds_write_b128 v29, v[57:60]
	s_waitcnt vmcnt(2)
	ds_write_b128 v30, v[61:64]
	s_waitcnt vmcnt(1)
	ds_write_b128 v31, v[65:68]
	s_waitcnt vmcnt(0)
	ds_write_b128 v32, v[69:72]
	s_waitcnt lgkmcnt(0)
	s_barrier
	ds_read_b128 v[57:60], v33
	ds_read_b128 v[61:64], v27 offset:896
	ds_read_b128 v[65:68], v33 offset:4608
	s_waitcnt lgkmcnt(1)
	;;#ASMSTART
	v_dot2_f32_f16 v56, v57, v61, v56
	;;#ASMEND
	;;#ASMSTART
	v_dot2_f32_f16 v56, v58, v62, v56
	;;#ASMEND
	;;#ASMSTART
	v_dot2_f32_f16 v56, v59, v63, v56
	;;#ASMEND
	;;#ASMSTART
	v_dot2_f32_f16 v56, v60, v64, v56
	;;#ASMEND
	s_waitcnt lgkmcnt(0)
	;;#ASMSTART
	v_dot2_f32_f16 v1, v65, v61, v1
	;;#ASMEND
	;;#ASMSTART
	v_dot2_f32_f16 v1, v66, v62, v1
	;;#ASMEND
	;;#ASMSTART
	v_dot2_f32_f16 v1, v67, v63, v1
	;;#ASMEND
	;;#ASMSTART
	v_dot2_f32_f16 v1, v68, v64, v1
	;;#ASMEND
	ds_read_b128 v[57:60], v33 offset:16
	ds_read_b128 v[61:64], v27 offset:912
	ds_read_b128 v[65:68], v33 offset:4624
	s_waitcnt lgkmcnt(1)
	;;#ASMSTART
	v_dot2_f32_f16 v56, v57, v61, v56
	;;#ASMEND
	;;#ASMSTART
	v_dot2_f32_f16 v56, v58, v62, v56
	;;#ASMEND
	;;#ASMSTART
	v_dot2_f32_f16 v56, v59, v63, v56
	;;#ASMEND
	;;#ASMSTART
	v_dot2_f32_f16 v56, v60, v64, v56
	;;#ASMEND
	s_waitcnt lgkmcnt(0)
	;;#ASMSTART
	v_dot2_f32_f16 v1, v65, v61, v1
	;;#ASMEND
	;;#ASMSTART
	v_dot2_f32_f16 v1, v66, v62, v1
	;;#ASMEND
	;;#ASMSTART
	v_dot2_f32_f16 v1, v67, v63, v1
	;;#ASMEND
	;;#ASMSTART
	v_dot2_f32_f16 v1, v68, v64, v1
	;;#ASMEND
	ds_read_b128 v[57:60], v33 offset:32
	ds_read_b128 v[61:64], v27 offset:928
	ds_read_b128 v[65:68], v33 offset:4640
	s_waitcnt lgkmcnt(1)
	;;#ASMSTART
	v_dot2_f32_f16 v56, v57, v61, v56
	;;#ASMEND
	;;#ASMSTART
	v_dot2_f32_f16 v56, v58, v62, v56
	;;#ASMEND
	;;#ASMSTART
	v_dot2_f32_f16 v56, v59, v63, v56
	;;#ASMEND
	;;#ASMSTART
	v_dot2_f32_f16 v56, v60, v64, v56
	;;#ASMEND
	s_waitcnt lgkmcnt(0)
	;;#ASMSTART
	v_dot2_f32_f16 v1, v65, v61, v1
	;;#ASMEND
	;;#ASMSTART
	v_dot2_f32_f16 v1, v66, v62, v1
	;;#ASMEND
	;;#ASMSTART
	v_dot2_f32_f16 v1, v67, v63, v1
	;;#ASMEND
	;;#ASMSTART
	v_dot2_f32_f16 v1, v68, v64, v1
	;;#ASMEND
	ds_read_b128 v[57:60], v33 offset:48
	ds_read_b128 v[61:64], v27 offset:944
	ds_read_b128 v[65:68], v33 offset:4656
	s_waitcnt lgkmcnt(1)
	;;#ASMSTART
	v_dot2_f32_f16 v56, v57, v61, v56
	;;#ASMEND
	;;#ASMSTART
	v_dot2_f32_f16 v56, v58, v62, v56
	;;#ASMEND
	;;#ASMSTART
	v_dot2_f32_f16 v56, v59, v63, v56
	;;#ASMEND
	;;#ASMSTART
	v_dot2_f32_f16 v56, v60, v64, v56
	;;#ASMEND
	s_waitcnt lgkmcnt(0)
	;;#ASMSTART
	v_dot2_f32_f16 v1, v65, v61, v1
	;;#ASMEND
	;;#ASMSTART
	v_dot2_f32_f16 v1, v66, v62, v1
	;;#ASMEND
	;;#ASMSTART
	v_dot2_f32_f16 v1, v67, v63, v1
	;;#ASMEND
	;;#ASMSTART
	v_dot2_f32_f16 v1, v68, v64, v1
	;;#ASMEND
	ds_read_b128 v[57:60], v33 offset:64
	ds_read_b128 v[61:64], v27 offset:960
	ds_read_b128 v[65:68], v33 offset:4672
	s_waitcnt lgkmcnt(1)
	;;#ASMSTART
	v_dot2_f32_f16 v56, v57, v61, v56
	;;#ASMEND
	;;#ASMSTART
	v_dot2_f32_f16 v56, v58, v62, v56
	;;#ASMEND
	;;#ASMSTART
	v_dot2_f32_f16 v56, v59, v63, v56
	;;#ASMEND
	;;#ASMSTART
	v_dot2_f32_f16 v56, v60, v64, v56
	;;#ASMEND
	s_waitcnt lgkmcnt(0)
	;;#ASMSTART
	v_dot2_f32_f16 v1, v65, v61, v1
	;;#ASMEND
	;;#ASMSTART
	v_dot2_f32_f16 v1, v66, v62, v1
	;;#ASMEND
	;;#ASMSTART
	v_dot2_f32_f16 v1, v67, v63, v1
	;;#ASMEND
	;;#ASMSTART
	v_dot2_f32_f16 v1, v68, v64, v1
	;;#ASMEND
	ds_read_b128 v[57:60], v33 offset:80
	ds_read_b128 v[61:64], v27 offset:976
	ds_read_b128 v[65:68], v33 offset:4688
	s_waitcnt lgkmcnt(1)
	;;#ASMSTART
	v_dot2_f32_f16 v56, v57, v61, v56
	;;#ASMEND
	;;#ASMSTART
	v_dot2_f32_f16 v56, v58, v62, v56
	;;#ASMEND
	;;#ASMSTART
	v_dot2_f32_f16 v56, v59, v63, v56
	;;#ASMEND
	;;#ASMSTART
	v_dot2_f32_f16 v56, v60, v64, v56
	;;#ASMEND
	s_waitcnt lgkmcnt(0)
	;;#ASMSTART
	v_dot2_f32_f16 v1, v65, v61, v1
	;;#ASMEND
	;;#ASMSTART
	v_dot2_f32_f16 v1, v66, v62, v1
	;;#ASMEND
	;;#ASMSTART
	v_dot2_f32_f16 v1, v67, v63, v1
	;;#ASMEND
	;;#ASMSTART
	v_dot2_f32_f16 v1, v68, v64, v1
	;;#ASMEND
	ds_read_b128 v[57:60], v33 offset:96
	ds_read_b128 v[61:64], v27 offset:992
	ds_read_b128 v[65:68], v33 offset:4704
	s_waitcnt lgkmcnt(1)
	;;#ASMSTART
	v_dot2_f32_f16 v56, v57, v61, v56
	;;#ASMEND
	;;#ASMSTART
	v_dot2_f32_f16 v56, v58, v62, v56
	;;#ASMEND
	;;#ASMSTART
	v_dot2_f32_f16 v56, v59, v63, v56
	;;#ASMEND
	;;#ASMSTART
	v_dot2_f32_f16 v56, v60, v64, v56
	;;#ASMEND
	s_waitcnt lgkmcnt(0)
	;;#ASMSTART
	v_dot2_f32_f16 v1, v65, v61, v1
	;;#ASMEND
	;;#ASMSTART
	v_dot2_f32_f16 v1, v66, v62, v1
	;;#ASMEND
	;;#ASMSTART
	v_dot2_f32_f16 v1, v67, v63, v1
	;;#ASMEND
	;;#ASMSTART
	v_dot2_f32_f16 v1, v68, v64, v1
	;;#ASMEND
	ds_read_b128 v[57:60], v33 offset:112
	ds_read_b128 v[61:64], v27 offset:1008
	ds_read_b128 v[65:68], v33 offset:4720
	s_waitcnt lgkmcnt(1)
	;;#ASMSTART
	v_dot2_f32_f16 v56, v57, v61, v56
	;;#ASMEND
	;;#ASMSTART
	v_dot2_f32_f16 v56, v58, v62, v56
	;;#ASMEND
	;; [unrolled: 3-line block ×4, first 2 shown]
	s_waitcnt lgkmcnt(0)
	;;#ASMSTART
	v_dot2_f32_f16 v1, v65, v61, v1
	;;#ASMEND
	;;#ASMSTART
	v_dot2_f32_f16 v1, v66, v62, v1
	;;#ASMEND
	;; [unrolled: 3-line block ×4, first 2 shown]
	s_barrier
	global_load_dwordx4 v[57:60], v[15:16], off offset:1024
	s_nop 0
	global_load_dwordx4 v[15:18], v[17:18], off offset:1024
	s_nop 0
	;; [unrolled: 2-line block ×3, first 2 shown]
	global_load_dwordx4 v[19:22], v[21:22], off offset:1024
	s_waitcnt vmcnt(3)
	ds_write_b128 v29, v[57:60]
	s_waitcnt vmcnt(2)
	ds_write_b128 v30, v[15:18]
	s_waitcnt vmcnt(1)
	ds_write_b128 v31, v[61:64]
	s_waitcnt vmcnt(0)
	ds_write_b128 v32, v[19:22]
	s_waitcnt lgkmcnt(0)
	s_barrier
	ds_read_b128 v[15:18], v33
	ds_read_b128 v[19:22], v27 offset:1024
	ds_read_b128 v[57:60], v33 offset:4608
	s_waitcnt lgkmcnt(1)
	;;#ASMSTART
	v_dot2_f32_f16 v56, v15, v19, v56
	;;#ASMEND
	;;#ASMSTART
	v_dot2_f32_f16 v56, v16, v20, v56
	;;#ASMEND
	;;#ASMSTART
	v_dot2_f32_f16 v56, v17, v21, v56
	;;#ASMEND
	;;#ASMSTART
	v_dot2_f32_f16 v56, v18, v22, v56
	;;#ASMEND
	s_waitcnt lgkmcnt(0)
	;;#ASMSTART
	v_dot2_f32_f16 v1, v57, v19, v1
	;;#ASMEND
	;;#ASMSTART
	v_dot2_f32_f16 v1, v58, v20, v1
	;;#ASMEND
	;;#ASMSTART
	v_dot2_f32_f16 v1, v59, v21, v1
	;;#ASMEND
	;;#ASMSTART
	v_dot2_f32_f16 v1, v60, v22, v1
	;;#ASMEND
	ds_read_b128 v[15:18], v33 offset:16
	ds_read_b128 v[19:22], v27 offset:1040
	ds_read_b128 v[57:60], v33 offset:4624
	s_waitcnt lgkmcnt(1)
	;;#ASMSTART
	v_dot2_f32_f16 v56, v15, v19, v56
	;;#ASMEND
	;;#ASMSTART
	v_dot2_f32_f16 v56, v16, v20, v56
	;;#ASMEND
	;;#ASMSTART
	v_dot2_f32_f16 v56, v17, v21, v56
	;;#ASMEND
	;;#ASMSTART
	v_dot2_f32_f16 v56, v18, v22, v56
	;;#ASMEND
	s_waitcnt lgkmcnt(0)
	;;#ASMSTART
	v_dot2_f32_f16 v1, v57, v19, v1
	;;#ASMEND
	;;#ASMSTART
	v_dot2_f32_f16 v1, v58, v20, v1
	;;#ASMEND
	;;#ASMSTART
	v_dot2_f32_f16 v1, v59, v21, v1
	;;#ASMEND
	;;#ASMSTART
	v_dot2_f32_f16 v1, v60, v22, v1
	;;#ASMEND
	ds_read_b128 v[15:18], v33 offset:32
	;; [unrolled: 29-line block ×7, first 2 shown]
	ds_read_b128 v[19:22], v27 offset:1136
	ds_read_b128 v[57:60], v33 offset:4720
	s_waitcnt lgkmcnt(1)
	;;#ASMSTART
	v_dot2_f32_f16 v56, v15, v19, v56
	;;#ASMEND
	;;#ASMSTART
	v_dot2_f32_f16 v56, v16, v20, v56
	;;#ASMEND
	;; [unrolled: 3-line block ×4, first 2 shown]
	s_waitcnt lgkmcnt(0)
	;;#ASMSTART
	v_dot2_f32_f16 v1, v57, v19, v1
	;;#ASMEND
	;;#ASMSTART
	v_dot2_f32_f16 v1, v58, v20, v1
	;;#ASMEND
	;; [unrolled: 3-line block ×3, first 2 shown]
	v_cmp_nlt_f32_e64 s[8:9], |v56|, s19
	;;#ASMSTART
	v_dot2_f32_f16 v1, v60, v22, v1
	;;#ASMEND
                                        ; implicit-def: $vgpr17
	s_and_saveexec_b64 s[36:37], s[8:9]
	s_xor_b64 s[8:9], exec, s[36:37]
	s_cbranch_execz .LBB28_18
; %bb.17:                               ;   in Loop: Header=BB28_16 Depth=1
	v_add_f32_e64 v15, |v56|, |v56|
	v_mul_f32_e32 v16, 0x3fb8aa3b, v15
	v_rndne_f32_e32 v17, v16
	v_sub_f32_e32 v18, v16, v17
	v_fma_f32 v16, v15, s24, -v16
	v_fmac_f32_e32 v16, 0x32a5705f, v15
	v_add_f32_e32 v16, v18, v16
	v_cvt_i32_f32_e32 v17, v17
	v_exp_f32_e32 v16, v16
	v_cmp_ngt_f32_e32 vcc, s25, v15
	v_ldexp_f32 v16, v16, v17
	v_cndmask_b32_e32 v16, 0, v16, vcc
	v_cmp_nlt_f32_e32 vcc, s26, v15
	v_cndmask_b32_e32 v15, v45, v16, vcc
	v_add_f32_e32 v15, 1.0, v15
	v_rcp_f32_e32 v15, v15
	v_fma_f32 v17, v15, -2.0, 1.0
.LBB28_18:                              ;   in Loop: Header=BB28_16 Depth=1
	s_andn2_saveexec_b64 s[8:9], s[8:9]
; %bb.19:                               ;   in Loop: Header=BB28_16 Depth=1
	v_mul_f32_e32 v15, v56, v56
	v_mov_b32_e32 v16, 0x3ca908c9
	v_fmac_f32_e32 v16, 0xbbbac73d, v15
	v_fma_f32 v16, v15, v16, v42
	v_fma_f32 v16, v15, v16, v43
	;; [unrolled: 1-line block ×3, first 2 shown]
	v_mul_f32_e64 v16, |v56|, v16
	v_fma_f32 v17, v15, v16, |v56|
; %bb.20:                               ;   in Loop: Header=BB28_16 Depth=1
	s_or_b64 exec, exec, s[8:9]
	v_add_u32_e32 v15, s6, v2
	v_ashrrev_i32_e32 v16, 31, v15
	v_lshlrev_b64 v[15:16], 1, v[15:16]
	v_mov_b32_e32 v18, s31
	v_add_co_u32_e32 v15, vcc, s30, v15
	v_addc_co_u32_e32 v16, vcc, v18, v16, vcc
	global_load_ushort v18, v[15:16], off
	v_cmp_nlt_f32_e64 s[8:9], |v1|, s19
                                        ; implicit-def: $vgpr57
	s_and_saveexec_b64 s[36:37], s[8:9]
	s_xor_b64 s[8:9], exec, s[36:37]
	s_cbranch_execz .LBB28_22
; %bb.21:                               ;   in Loop: Header=BB28_16 Depth=1
	v_add_f32_e64 v19, |v1|, |v1|
	v_mul_f32_e32 v20, 0x3fb8aa3b, v19
	v_rndne_f32_e32 v21, v20
	v_sub_f32_e32 v22, v20, v21
	v_fma_f32 v20, v19, s24, -v20
	v_fmac_f32_e32 v20, 0x32a5705f, v19
	v_add_f32_e32 v20, v22, v20
	v_cvt_i32_f32_e32 v21, v21
	v_exp_f32_e32 v20, v20
	v_cmp_ngt_f32_e32 vcc, s25, v19
	v_ldexp_f32 v20, v20, v21
	v_cndmask_b32_e32 v20, 0, v20, vcc
	v_cmp_nlt_f32_e32 vcc, s26, v19
	v_cndmask_b32_e32 v19, v45, v20, vcc
	v_add_f32_e32 v19, 1.0, v19
	v_rcp_f32_e32 v19, v19
	v_fma_f32 v57, v19, -2.0, 1.0
.LBB28_22:                              ;   in Loop: Header=BB28_16 Depth=1
	s_andn2_saveexec_b64 s[8:9], s[8:9]
; %bb.23:                               ;   in Loop: Header=BB28_16 Depth=1
	v_mul_f32_e32 v19, v1, v1
	v_mov_b32_e32 v20, 0x3ca908c9
	v_fmac_f32_e32 v20, 0xbbbac73d, v19
	v_fma_f32 v20, v19, v20, v42
	v_fma_f32 v20, v19, v20, v43
	;; [unrolled: 1-line block ×3, first 2 shown]
	v_mul_f32_e64 v20, |v1|, v20
	v_fma_f32 v57, v19, v20, |v1|
; %bb.24:                               ;   in Loop: Header=BB28_16 Depth=1
	s_or_b64 exec, exec, s[8:9]
	global_load_ushort v15, v[15:16], off offset:64
	v_bfi_b32 v17, s27, v17, v56
	s_waitcnt vmcnt(1)
	v_fma_mix_f32 v56, s14, v17, v18 op_sel_hi:[0,0,1]
	v_and_b32_e32 v17, 0x60, v28
	v_xor_b32_e32 v18, 1, v28
	v_add_u32_e32 v17, 32, v17
	v_cmp_lt_i32_e32 vcc, v18, v17
	v_xor_b32_e32 v19, 2, v28
	v_cndmask_b32_e32 v59, v28, v18, vcc
	v_cmp_lt_i32_e32 vcc, v19, v17
	v_xor_b32_e32 v20, 4, v28
	v_cndmask_b32_e32 v60, v28, v19, vcc
	;; [unrolled: 3-line block ×3, first 2 shown]
	v_cmp_lt_i32_e32 vcc, v21, v17
	v_xor_b32_e32 v22, 16, v28
	v_bfi_b32 v1, s27, v57, v1
	v_cndmask_b32_e32 v62, v28, v21, vcc
	v_cmp_lt_i32_e32 vcc, v22, v17
	v_add_f32_e32 v58, 0x40051340, v56
	v_cndmask_b32_e32 v63, v28, v22, vcc
	v_lshlrev_b32_e32 v16, 2, v63
	v_lshlrev_b32_e32 v57, 2, v62
	;; [unrolled: 1-line block ×4, first 2 shown]
	s_mul_hi_i32 s9, s6, s15
	s_mul_i32 s8, s6, s15
	s_lshl_b64 s[8:9], s[8:9], 2
	s_add_u32 s8, s12, s8
	s_addc_u32 s9, s13, s9
	s_waitcnt vmcnt(0)
	s_barrier
	v_fma_mix_f32 v15, s14, v1, v15 op_sel_hi:[0,0,1]
	v_add_f32_e32 v1, 0x40051340, v15
	v_max3_f32 v1, v55, v58, v1
	ds_bpermute_b32 v16, v16, v1
	v_lshlrev_b32_e32 v58, 2, v61
	s_waitcnt lgkmcnt(0)
	v_max_f32_e32 v16, v16, v16
	v_max_f32_e32 v1, v1, v16
	ds_bpermute_b32 v16, v57, v1
	s_waitcnt lgkmcnt(0)
	v_max_f32_e32 v16, v16, v16
	v_max_f32_e32 v1, v1, v16
	ds_bpermute_b32 v16, v58, v1
	;; [unrolled: 4-line block ×4, first 2 shown]
	s_waitcnt lgkmcnt(0)
	v_max_f32_e32 v16, v16, v16
	v_max_f32_e32 v1, v1, v16
	v_sub_f32_e32 v16, v55, v1
	v_sub_f32_e32 v55, v56, v1
	v_mul_f32_e32 v56, 0x3fb8aa3b, v55
	v_fma_f32 v57, v55, s24, -v56
	v_rndne_f32_e32 v58, v56
	v_fmac_f32_e32 v57, 0x32a5705f, v55
	v_sub_f32_e32 v56, v56, v58
	v_add_f32_e32 v56, v56, v57
	v_exp_f32_e32 v56, v56
	v_cvt_i32_f32_e32 v57, v58
	v_sub_f32_e32 v15, v15, v1
	v_cmp_ngt_f32_e32 vcc, s25, v55
	v_ldexp_f32 v56, v56, v57
	v_mul_f32_e32 v57, 0x3fb8aa3b, v15
	v_fma_f32 v58, v15, s24, -v57
	v_rndne_f32_e32 v59, v57
	v_fmac_f32_e32 v58, 0x32a5705f, v15
	v_sub_f32_e32 v57, v57, v59
	v_add_f32_e32 v57, v57, v58
	v_exp_f32_e32 v57, v57
	v_cvt_i32_f32_e32 v58, v59
	v_cndmask_b32_e32 v56, 0, v56, vcc
	v_cmp_nlt_f32_e32 vcc, s26, v55
	v_cndmask_b32_e32 v55, v45, v56, vcc
	v_ldexp_f32 v57, v57, v58
	v_cmp_ngt_f32_e32 vcc, s25, v15
	v_cndmask_b32_e32 v57, 0, v57, vcc
	v_cmp_nlt_f32_e32 vcc, s26, v15
	v_cndmask_b32_e32 v57, v45, v57, vcc
	v_cvt_f16_f32_e32 v56, v55
	v_add_f32_e32 v15, v55, v57
	v_cvt_f16_f32_e32 v55, v57
	v_mul_f32_e32 v57, 0x3fb8aa3b, v16
	v_fma_f32 v58, v16, s24, -v57
	v_rndne_f32_e32 v59, v57
	v_fmac_f32_e32 v58, 0x32a5705f, v16
	v_sub_f32_e32 v57, v57, v59
	v_add_f32_e32 v57, v57, v58
	v_exp_f32_e32 v57, v57
	v_cvt_i32_f32_e32 v58, v59
	v_cmp_ngt_f32_e32 vcc, s25, v16
	ds_write_b16 v35, v56
	ds_write_b16 v35, v55 offset:64
	v_mov_b32_e32 v55, s9
	v_ldexp_f32 v57, v57, v58
	v_cndmask_b32_e32 v57, 0, v57, vcc
	v_cmp_nlt_f32_e32 vcc, s26, v16
	v_cndmask_b32_e32 v16, v45, v57, vcc
	v_fmac_f32_e32 v15, v54, v16
	v_add_co_u32_e32 v54, vcc, s8, v11
	v_addc_co_u32_e32 v55, vcc, v55, v12, vcc
	v_add_co_u32_e32 v58, vcc, v54, v36
	v_addc_co_u32_e32 v59, vcc, 0, v55, vcc
	global_load_dwordx4 v[54:57], v[58:59], off
	v_cvt_f16_f32_e32 v16, v16
	v_mul_u32_u24_e32 v16, 0x10001, v16
	v_pk_mul_f16 v52, v52, v16
	v_pk_mul_f16 v53, v53, v16
	v_pk_mul_f16 v50, v50, v16
	v_pk_mul_f16 v51, v51, v16
	v_pk_mul_f16 v49, v49, v16
	v_pk_mul_f16 v48, v48, v16
	s_waitcnt vmcnt(0)
	ds_write_b128 v37, v[54:57]
	global_load_dwordx4 v[54:57], v[58:59], off offset:512
	s_waitcnt vmcnt(0)
	ds_write_b128 v38, v[54:57]
	v_add_co_u32_e32 v54, vcc, s8, v13
	v_mov_b32_e32 v55, s9
	v_addc_co_u32_e32 v55, vcc, v55, v14, vcc
	v_add_co_u32_e32 v58, vcc, v54, v36
	v_addc_co_u32_e32 v59, vcc, 0, v55, vcc
	global_load_dwordx4 v[54:57], v[58:59], off
	s_or_b32 s8, s6, 8
	s_mul_hi_i32 s9, s8, s15
	s_mul_i32 s8, s8, s15
	s_lshl_b64 s[8:9], s[8:9], 2
	s_add_u32 s8, s12, s8
	s_addc_u32 s9, s13, s9
	s_waitcnt vmcnt(0)
	ds_write_b128 v39, v[54:57]
	global_load_dwordx4 v[54:57], v[58:59], off offset:512
	s_waitcnt vmcnt(0)
	ds_write_b128 v40, v[54:57]
	s_waitcnt lgkmcnt(0)
	s_barrier
	ds_read2_b64 v[54:57], v26 offset1:32
	ds_read2_b64 v[58:61], v26 offset0:64 offset1:96
	ds_read_b128 v[62:65], v34
	s_waitcnt lgkmcnt(0)
	v_mul_u32_u24_sdwa v66, v62, s34 dst_sel:DWORD dst_unused:UNUSED_PAD src0_sel:WORD_0 src1_sel:DWORD
	v_pk_mul_f16 v54, v54, v66
	v_pk_fma_f16 v54, v46, v16, v54
	v_pk_mul_f16 v46, v55, v66
	v_pk_fma_f16 v16, v47, v16, v46
	v_pk_fma_f16 v55, v56, v66, v52
	;; [unrolled: 1-line block ×7, first 2 shown]
	ds_read2_b64 v[46:49], v26 offset0:128 offset1:160
	ds_read2_b64 v[50:53], v26 offset0:192 offset1:224
	v_mul_u32_u24_sdwa v61, v62, s34 dst_sel:DWORD dst_unused:UNUSED_PAD src0_sel:WORD_1 src1_sel:DWORD
	s_waitcnt lgkmcnt(1)
	v_pk_fma_f16 v62, v47, v61, v16
	v_add_u32_e32 v16, 0x800, v26
	v_pk_fma_f16 v54, v46, v61, v54
	v_pk_fma_f16 v55, v48, v61, v55
	v_pk_fma_f16 v56, v49, v61, v56
	s_waitcnt lgkmcnt(0)
	v_pk_fma_f16 v57, v50, v61, v57
	v_pk_fma_f16 v58, v51, v61, v58
	v_pk_fma_f16 v59, v52, v61, v59
	v_pk_fma_f16 v60, v53, v61, v60
	ds_read2_b64 v[46:49], v16 offset1:32
	ds_read2_b64 v[50:53], v16 offset0:64 offset1:96
	v_mul_u32_u24_sdwa v61, v63, s34 dst_sel:DWORD dst_unused:UNUSED_PAD src0_sel:WORD_0 src1_sel:DWORD
	s_waitcnt lgkmcnt(1)
	v_pk_fma_f16 v54, v46, v61, v54
	v_pk_fma_f16 v62, v47, v61, v62
	v_pk_fma_f16 v55, v48, v61, v55
	v_pk_fma_f16 v56, v49, v61, v56
	s_waitcnt lgkmcnt(0)
	v_pk_fma_f16 v57, v50, v61, v57
	v_pk_fma_f16 v58, v51, v61, v58
	v_pk_fma_f16 v59, v52, v61, v59
	v_pk_fma_f16 v60, v53, v61, v60
	ds_read2_b64 v[46:49], v16 offset0:128 offset1:160
	ds_read2_b64 v[50:53], v16 offset0:192 offset1:224
	v_mul_u32_u24_sdwa v61, v63, s34 dst_sel:DWORD dst_unused:UNUSED_PAD src0_sel:WORD_1 src1_sel:DWORD
	s_waitcnt lgkmcnt(1)
	v_pk_fma_f16 v63, v46, v61, v54
	v_add_u32_e32 v46, 0x1000, v26
	v_pk_fma_f16 v62, v47, v61, v62
	v_pk_fma_f16 v55, v48, v61, v55
	v_pk_fma_f16 v56, v49, v61, v56
	s_waitcnt lgkmcnt(0)
	v_pk_fma_f16 v57, v50, v61, v57
	v_pk_fma_f16 v58, v51, v61, v58
	v_pk_fma_f16 v59, v52, v61, v59
	v_pk_fma_f16 v60, v53, v61, v60
	ds_read2_b64 v[47:50], v46 offset1:32
	ds_read2_b64 v[51:54], v46 offset0:64 offset1:96
	v_mul_u32_u24_sdwa v61, v64, s34 dst_sel:DWORD dst_unused:UNUSED_PAD src0_sel:WORD_0 src1_sel:DWORD
	s_waitcnt lgkmcnt(1)
	v_pk_fma_f16 v63, v47, v61, v63
	v_pk_fma_f16 v62, v48, v61, v62
	v_pk_fma_f16 v55, v49, v61, v55
	v_pk_fma_f16 v56, v50, v61, v56
	s_waitcnt lgkmcnt(0)
	v_pk_fma_f16 v57, v51, v61, v57
	v_pk_fma_f16 v58, v52, v61, v58
	v_pk_fma_f16 v59, v53, v61, v59
	v_pk_fma_f16 v60, v54, v61, v60
	;; [unrolled: 27-line block ×3, first 2 shown]
	ds_read2_b64 v[48:51], v47 offset0:128 offset1:160
	ds_read2_b64 v[52:55], v47 offset0:192 offset1:224
	v_mul_u32_u24_sdwa v61, v65, s34 dst_sel:DWORD dst_unused:UNUSED_PAD src0_sel:WORD_1 src1_sel:DWORD
	s_waitcnt lgkmcnt(0)
	s_barrier
	v_pk_fma_f16 v63, v48, v61, v63
	v_pk_fma_f16 v62, v49, v61, v62
	v_add_co_u32_e32 v48, vcc, s8, v11
	v_mov_b32_e32 v49, s9
	v_addc_co_u32_e32 v49, vcc, v49, v12, vcc
	v_pk_fma_f16 v66, v52, v61, v57
	v_add_co_u32_e32 v52, vcc, v48, v36
	v_pk_fma_f16 v67, v53, v61, v58
	v_addc_co_u32_e32 v53, vcc, 0, v49, vcc
	v_pk_fma_f16 v64, v50, v61, v64
	v_pk_fma_f16 v65, v51, v61, v56
	global_load_dwordx4 v[48:51], v[52:53], off
	v_pk_fma_f16 v68, v54, v61, v59
	v_pk_fma_f16 v60, v55, v61, v60
	s_waitcnt vmcnt(0)
	ds_write_b128 v37, v[48:51]
	global_load_dwordx4 v[48:51], v[52:53], off offset:512
	s_waitcnt vmcnt(0)
	ds_write_b128 v38, v[48:51]
	v_add_co_u32_e32 v48, vcc, s8, v13
	v_mov_b32_e32 v49, s9
	v_addc_co_u32_e32 v49, vcc, v49, v14, vcc
	v_add_co_u32_e32 v52, vcc, v48, v36
	v_addc_co_u32_e32 v53, vcc, 0, v49, vcc
	global_load_dwordx4 v[48:51], v[52:53], off
	s_or_b32 s8, s6, 16
	s_mul_hi_i32 s9, s8, s15
	s_mul_i32 s8, s8, s15
	s_lshl_b64 s[8:9], s[8:9], 2
	s_add_u32 s8, s12, s8
	s_addc_u32 s9, s13, s9
	s_waitcnt vmcnt(0)
	ds_write_b128 v39, v[48:51]
	global_load_dwordx4 v[48:51], v[52:53], off offset:512
	s_waitcnt vmcnt(0)
	ds_write_b128 v40, v[48:51]
	s_waitcnt lgkmcnt(0)
	s_barrier
	ds_read2_b64 v[48:51], v26 offset1:32
	ds_read2_b64 v[52:55], v26 offset0:64 offset1:96
	ds_read_b128 v[56:59], v34 offset:16
	s_waitcnt lgkmcnt(0)
	v_mul_u32_u24_sdwa v61, v56, s34 dst_sel:DWORD dst_unused:UNUSED_PAD src0_sel:WORD_0 src1_sel:DWORD
	v_pk_fma_f16 v63, v48, v61, v63
	v_pk_fma_f16 v62, v49, v61, v62
	;; [unrolled: 1-line block ×8, first 2 shown]
	ds_read2_b64 v[48:51], v26 offset0:128 offset1:160
	ds_read2_b64 v[52:55], v26 offset0:192 offset1:224
	v_mul_u32_u24_sdwa v56, v56, s34 dst_sel:DWORD dst_unused:UNUSED_PAD src0_sel:WORD_1 src1_sel:DWORD
	s_waitcnt lgkmcnt(1)
	v_pk_fma_f16 v61, v48, v56, v63
	v_pk_fma_f16 v62, v49, v56, v62
	;; [unrolled: 1-line block ×4, first 2 shown]
	s_waitcnt lgkmcnt(0)
	v_pk_fma_f16 v65, v52, v56, v66
	v_pk_fma_f16 v66, v53, v56, v67
	;; [unrolled: 1-line block ×4, first 2 shown]
	ds_read2_b64 v[48:51], v16 offset1:32
	ds_read2_b64 v[52:55], v16 offset0:64 offset1:96
	v_mul_u32_u24_sdwa v60, v57, s34 dst_sel:DWORD dst_unused:UNUSED_PAD src0_sel:WORD_0 src1_sel:DWORD
	v_mul_u32_u24_sdwa v57, v57, s34 dst_sel:DWORD dst_unused:UNUSED_PAD src0_sel:WORD_1 src1_sel:DWORD
	s_waitcnt lgkmcnt(1)
	v_pk_fma_f16 v61, v48, v60, v61
	v_pk_fma_f16 v62, v49, v60, v62
	;; [unrolled: 1-line block ×4, first 2 shown]
	s_waitcnt lgkmcnt(0)
	v_pk_fma_f16 v65, v52, v60, v65
	v_pk_fma_f16 v66, v53, v60, v66
	;; [unrolled: 1-line block ×4, first 2 shown]
	ds_read2_b64 v[48:51], v16 offset0:128 offset1:160
	ds_read2_b64 v[52:55], v16 offset0:192 offset1:224
	s_waitcnt lgkmcnt(1)
	v_pk_fma_f16 v60, v48, v57, v61
	v_pk_fma_f16 v61, v49, v57, v62
	;; [unrolled: 1-line block ×4, first 2 shown]
	s_waitcnt lgkmcnt(0)
	v_pk_fma_f16 v64, v52, v57, v65
	v_pk_fma_f16 v65, v53, v57, v66
	;; [unrolled: 1-line block ×4, first 2 shown]
	ds_read2_b64 v[48:51], v46 offset1:32
	ds_read2_b64 v[52:55], v46 offset0:64 offset1:96
	v_mul_u32_u24_sdwa v57, v58, s34 dst_sel:DWORD dst_unused:UNUSED_PAD src0_sel:WORD_0 src1_sel:DWORD
	s_waitcnt lgkmcnt(1)
	v_pk_fma_f16 v60, v48, v57, v60
	v_pk_fma_f16 v61, v49, v57, v61
	;; [unrolled: 1-line block ×4, first 2 shown]
	s_waitcnt lgkmcnt(0)
	v_pk_fma_f16 v64, v52, v57, v64
	v_pk_fma_f16 v65, v53, v57, v65
	;; [unrolled: 1-line block ×4, first 2 shown]
	ds_read2_b64 v[48:51], v46 offset0:128 offset1:160
	ds_read2_b64 v[52:55], v46 offset0:192 offset1:224
	v_mul_u32_u24_sdwa v57, v58, s34 dst_sel:DWORD dst_unused:UNUSED_PAD src0_sel:WORD_1 src1_sel:DWORD
	s_waitcnt lgkmcnt(1)
	v_pk_fma_f16 v58, v48, v57, v60
	v_pk_fma_f16 v60, v49, v57, v61
	;; [unrolled: 1-line block ×4, first 2 shown]
	s_waitcnt lgkmcnt(0)
	v_pk_fma_f16 v63, v52, v57, v64
	v_pk_fma_f16 v64, v53, v57, v65
	;; [unrolled: 1-line block ×4, first 2 shown]
	ds_read2_b64 v[48:51], v47 offset1:32
	ds_read2_b64 v[52:55], v47 offset0:64 offset1:96
	v_mul_u32_u24_sdwa v57, v59, s34 dst_sel:DWORD dst_unused:UNUSED_PAD src0_sel:WORD_0 src1_sel:DWORD
	s_waitcnt lgkmcnt(1)
	v_pk_fma_f16 v58, v48, v57, v58
	v_pk_fma_f16 v60, v49, v57, v60
	;; [unrolled: 1-line block ×4, first 2 shown]
	s_waitcnt lgkmcnt(0)
	v_pk_fma_f16 v63, v52, v57, v63
	v_pk_fma_f16 v64, v53, v57, v64
	;; [unrolled: 1-line block ×4, first 2 shown]
	ds_read2_b64 v[48:51], v47 offset0:128 offset1:160
	ds_read2_b64 v[52:55], v47 offset0:192 offset1:224
	v_mul_u32_u24_sdwa v57, v59, s34 dst_sel:DWORD dst_unused:UNUSED_PAD src0_sel:WORD_1 src1_sel:DWORD
	s_waitcnt lgkmcnt(0)
	s_barrier
	v_pk_fma_f16 v66, v48, v57, v58
	v_pk_fma_f16 v60, v49, v57, v60
	v_add_co_u32_e32 v48, vcc, s8, v11
	v_mov_b32_e32 v49, s9
	v_addc_co_u32_e32 v49, vcc, v49, v12, vcc
	v_pk_fma_f16 v63, v52, v57, v63
	v_add_co_u32_e32 v52, vcc, v48, v36
	v_pk_fma_f16 v64, v53, v57, v64
	v_addc_co_u32_e32 v53, vcc, 0, v49, vcc
	v_pk_fma_f16 v61, v50, v57, v61
	v_pk_fma_f16 v62, v51, v57, v62
	global_load_dwordx4 v[48:51], v[52:53], off
	v_pk_fma_f16 v65, v54, v57, v65
	v_pk_fma_f16 v67, v55, v57, v56
	s_waitcnt vmcnt(0)
	ds_write_b128 v37, v[48:51]
	global_load_dwordx4 v[48:51], v[52:53], off offset:512
	s_waitcnt vmcnt(0)
	ds_write_b128 v38, v[48:51]
	v_add_co_u32_e32 v48, vcc, s8, v13
	v_mov_b32_e32 v49, s9
	v_addc_co_u32_e32 v49, vcc, v49, v14, vcc
	v_add_co_u32_e32 v52, vcc, v48, v36
	v_addc_co_u32_e32 v53, vcc, 0, v49, vcc
	global_load_dwordx4 v[48:51], v[52:53], off
	s_or_b32 s8, s6, 24
	s_mul_hi_i32 s9, s8, s15
	s_mul_i32 s8, s8, s15
	s_lshl_b64 s[8:9], s[8:9], 2
	s_add_u32 s8, s12, s8
	s_addc_u32 s9, s13, s9
	s_waitcnt vmcnt(0)
	ds_write_b128 v39, v[48:51]
	global_load_dwordx4 v[48:51], v[52:53], off offset:512
	s_waitcnt vmcnt(0)
	ds_write_b128 v40, v[48:51]
	s_waitcnt lgkmcnt(0)
	s_barrier
	ds_read2_b64 v[48:51], v26 offset1:32
	ds_read2_b64 v[52:55], v26 offset0:64 offset1:96
	ds_read_b128 v[56:59], v34 offset:32
	s_waitcnt lgkmcnt(0)
	v_mul_u32_u24_sdwa v68, v56, s34 dst_sel:DWORD dst_unused:UNUSED_PAD src0_sel:WORD_0 src1_sel:DWORD
	v_pk_fma_f16 v66, v48, v68, v66
	v_pk_fma_f16 v60, v49, v68, v60
	;; [unrolled: 1-line block ×8, first 2 shown]
	ds_read2_b64 v[48:51], v26 offset0:128 offset1:160
	ds_read2_b64 v[52:55], v26 offset0:192 offset1:224
	v_mul_u32_u24_sdwa v56, v56, s34 dst_sel:DWORD dst_unused:UNUSED_PAD src0_sel:WORD_1 src1_sel:DWORD
	s_waitcnt lgkmcnt(1)
	v_pk_fma_f16 v66, v48, v56, v66
	v_pk_fma_f16 v60, v49, v56, v60
	v_pk_fma_f16 v61, v50, v56, v61
	v_pk_fma_f16 v62, v51, v56, v62
	s_waitcnt lgkmcnt(0)
	v_pk_fma_f16 v63, v52, v56, v63
	v_pk_fma_f16 v64, v53, v56, v64
	v_pk_fma_f16 v65, v54, v56, v65
	v_pk_fma_f16 v56, v55, v56, v67
	ds_read2_b64 v[48:51], v16 offset1:32
	ds_read2_b64 v[52:55], v16 offset0:64 offset1:96
	v_mul_u32_u24_sdwa v67, v57, s34 dst_sel:DWORD dst_unused:UNUSED_PAD src0_sel:WORD_0 src1_sel:DWORD
	v_mul_u32_u24_sdwa v57, v57, s34 dst_sel:DWORD dst_unused:UNUSED_PAD src0_sel:WORD_1 src1_sel:DWORD
	s_waitcnt lgkmcnt(1)
	v_pk_fma_f16 v66, v48, v67, v66
	v_pk_fma_f16 v60, v49, v67, v60
	;; [unrolled: 1-line block ×4, first 2 shown]
	s_waitcnt lgkmcnt(0)
	v_pk_fma_f16 v63, v52, v67, v63
	v_pk_fma_f16 v64, v53, v67, v64
	;; [unrolled: 1-line block ×4, first 2 shown]
	ds_read2_b64 v[48:51], v16 offset0:128 offset1:160
	ds_read2_b64 v[52:55], v16 offset0:192 offset1:224
	s_waitcnt lgkmcnt(1)
	v_pk_fma_f16 v66, v48, v57, v66
	v_pk_fma_f16 v60, v49, v57, v60
	;; [unrolled: 1-line block ×4, first 2 shown]
	s_waitcnt lgkmcnt(0)
	v_pk_fma_f16 v63, v52, v57, v63
	v_pk_fma_f16 v64, v53, v57, v64
	;; [unrolled: 1-line block ×4, first 2 shown]
	ds_read2_b64 v[48:51], v46 offset1:32
	ds_read2_b64 v[52:55], v46 offset0:64 offset1:96
	v_mul_u32_u24_sdwa v57, v58, s34 dst_sel:DWORD dst_unused:UNUSED_PAD src0_sel:WORD_0 src1_sel:DWORD
	s_waitcnt lgkmcnt(1)
	v_pk_fma_f16 v66, v48, v57, v66
	v_pk_fma_f16 v60, v49, v57, v60
	;; [unrolled: 1-line block ×4, first 2 shown]
	s_waitcnt lgkmcnt(0)
	v_pk_fma_f16 v63, v52, v57, v63
	v_pk_fma_f16 v64, v53, v57, v64
	;; [unrolled: 1-line block ×4, first 2 shown]
	ds_read2_b64 v[48:51], v46 offset0:128 offset1:160
	ds_read2_b64 v[52:55], v46 offset0:192 offset1:224
	v_mul_u32_u24_sdwa v57, v58, s34 dst_sel:DWORD dst_unused:UNUSED_PAD src0_sel:WORD_1 src1_sel:DWORD
	s_waitcnt lgkmcnt(1)
	v_pk_fma_f16 v58, v48, v57, v66
	v_pk_fma_f16 v60, v49, v57, v60
	;; [unrolled: 1-line block ×4, first 2 shown]
	s_waitcnt lgkmcnt(0)
	v_pk_fma_f16 v63, v52, v57, v63
	v_pk_fma_f16 v64, v53, v57, v64
	;; [unrolled: 1-line block ×4, first 2 shown]
	ds_read2_b64 v[48:51], v47 offset1:32
	ds_read2_b64 v[52:55], v47 offset0:64 offset1:96
	v_mul_u32_u24_sdwa v57, v59, s34 dst_sel:DWORD dst_unused:UNUSED_PAD src0_sel:WORD_0 src1_sel:DWORD
	s_waitcnt lgkmcnt(1)
	v_pk_fma_f16 v58, v48, v57, v58
	v_pk_fma_f16 v60, v49, v57, v60
	;; [unrolled: 1-line block ×4, first 2 shown]
	s_waitcnt lgkmcnt(0)
	v_pk_fma_f16 v63, v52, v57, v63
	v_pk_fma_f16 v64, v53, v57, v64
	;; [unrolled: 1-line block ×4, first 2 shown]
	ds_read2_b64 v[48:51], v47 offset0:128 offset1:160
	ds_read2_b64 v[52:55], v47 offset0:192 offset1:224
	v_mul_u32_u24_sdwa v57, v59, s34 dst_sel:DWORD dst_unused:UNUSED_PAD src0_sel:WORD_1 src1_sel:DWORD
	s_waitcnt lgkmcnt(0)
	s_barrier
	v_pk_fma_f16 v66, v48, v57, v58
	v_pk_fma_f16 v60, v49, v57, v60
	v_add_co_u32_e32 v48, vcc, s8, v11
	v_mov_b32_e32 v49, s9
	v_addc_co_u32_e32 v49, vcc, v49, v12, vcc
	v_pk_fma_f16 v63, v52, v57, v63
	v_add_co_u32_e32 v52, vcc, v48, v36
	v_pk_fma_f16 v64, v53, v57, v64
	v_addc_co_u32_e32 v53, vcc, 0, v49, vcc
	v_pk_fma_f16 v61, v50, v57, v61
	v_pk_fma_f16 v62, v51, v57, v62
	global_load_dwordx4 v[48:51], v[52:53], off
	v_pk_fma_f16 v65, v54, v57, v65
	v_pk_fma_f16 v67, v55, v57, v56
	s_waitcnt vmcnt(0)
	ds_write_b128 v37, v[48:51]
	global_load_dwordx4 v[48:51], v[52:53], off offset:512
	s_waitcnt vmcnt(0)
	ds_write_b128 v38, v[48:51]
	v_add_co_u32_e32 v48, vcc, s8, v13
	v_mov_b32_e32 v49, s9
	v_addc_co_u32_e32 v49, vcc, v49, v14, vcc
	v_add_co_u32_e32 v52, vcc, v48, v36
	v_addc_co_u32_e32 v53, vcc, 0, v49, vcc
	global_load_dwordx4 v[48:51], v[52:53], off
	s_or_b32 s8, s6, 32
	s_mul_hi_i32 s9, s8, s15
	s_mul_i32 s8, s8, s15
	s_lshl_b64 s[8:9], s[8:9], 2
	s_add_u32 s8, s12, s8
	s_addc_u32 s9, s13, s9
	s_waitcnt vmcnt(0)
	ds_write_b128 v39, v[48:51]
	global_load_dwordx4 v[48:51], v[52:53], off offset:512
	s_waitcnt vmcnt(0)
	ds_write_b128 v40, v[48:51]
	s_waitcnt lgkmcnt(0)
	s_barrier
	ds_read2_b64 v[48:51], v26 offset1:32
	ds_read2_b64 v[52:55], v26 offset0:64 offset1:96
	ds_read_b128 v[56:59], v34 offset:48
	s_waitcnt lgkmcnt(0)
	v_mul_u32_u24_sdwa v68, v56, s34 dst_sel:DWORD dst_unused:UNUSED_PAD src0_sel:WORD_0 src1_sel:DWORD
	v_pk_fma_f16 v66, v48, v68, v66
	v_pk_fma_f16 v60, v49, v68, v60
	v_pk_fma_f16 v61, v50, v68, v61
	v_pk_fma_f16 v62, v51, v68, v62
	v_pk_fma_f16 v63, v52, v68, v63
	v_pk_fma_f16 v64, v53, v68, v64
	v_pk_fma_f16 v65, v54, v68, v65
	v_pk_fma_f16 v67, v55, v68, v67
	ds_read2_b64 v[48:51], v26 offset0:128 offset1:160
	ds_read2_b64 v[52:55], v26 offset0:192 offset1:224
	v_mul_u32_u24_sdwa v56, v56, s34 dst_sel:DWORD dst_unused:UNUSED_PAD src0_sel:WORD_1 src1_sel:DWORD
	s_waitcnt lgkmcnt(1)
	v_pk_fma_f16 v66, v48, v56, v66
	v_pk_fma_f16 v60, v49, v56, v60
	;; [unrolled: 1-line block ×4, first 2 shown]
	s_waitcnt lgkmcnt(0)
	v_pk_fma_f16 v63, v52, v56, v63
	v_pk_fma_f16 v64, v53, v56, v64
	;; [unrolled: 1-line block ×4, first 2 shown]
	ds_read2_b64 v[48:51], v16 offset1:32
	ds_read2_b64 v[52:55], v16 offset0:64 offset1:96
	v_mul_u32_u24_sdwa v67, v57, s34 dst_sel:DWORD dst_unused:UNUSED_PAD src0_sel:WORD_0 src1_sel:DWORD
	v_mul_u32_u24_sdwa v57, v57, s34 dst_sel:DWORD dst_unused:UNUSED_PAD src0_sel:WORD_1 src1_sel:DWORD
	s_waitcnt lgkmcnt(1)
	v_pk_fma_f16 v66, v48, v67, v66
	v_pk_fma_f16 v60, v49, v67, v60
	;; [unrolled: 1-line block ×4, first 2 shown]
	s_waitcnt lgkmcnt(0)
	v_pk_fma_f16 v63, v52, v67, v63
	v_pk_fma_f16 v64, v53, v67, v64
	;; [unrolled: 1-line block ×4, first 2 shown]
	ds_read2_b64 v[48:51], v16 offset0:128 offset1:160
	ds_read2_b64 v[52:55], v16 offset0:192 offset1:224
	s_waitcnt lgkmcnt(1)
	v_pk_fma_f16 v66, v48, v57, v66
	v_pk_fma_f16 v60, v49, v57, v60
	;; [unrolled: 1-line block ×4, first 2 shown]
	s_waitcnt lgkmcnt(0)
	v_pk_fma_f16 v63, v52, v57, v63
	v_pk_fma_f16 v64, v53, v57, v64
	;; [unrolled: 1-line block ×4, first 2 shown]
	ds_read2_b64 v[48:51], v46 offset1:32
	ds_read2_b64 v[52:55], v46 offset0:64 offset1:96
	v_mul_u32_u24_sdwa v57, v58, s34 dst_sel:DWORD dst_unused:UNUSED_PAD src0_sel:WORD_0 src1_sel:DWORD
	s_waitcnt lgkmcnt(1)
	v_pk_fma_f16 v66, v48, v57, v66
	v_pk_fma_f16 v60, v49, v57, v60
	;; [unrolled: 1-line block ×4, first 2 shown]
	s_waitcnt lgkmcnt(0)
	v_pk_fma_f16 v63, v52, v57, v63
	v_pk_fma_f16 v64, v53, v57, v64
	;; [unrolled: 1-line block ×4, first 2 shown]
	ds_read2_b64 v[48:51], v46 offset0:128 offset1:160
	ds_read2_b64 v[52:55], v46 offset0:192 offset1:224
	v_mul_u32_u24_sdwa v57, v58, s34 dst_sel:DWORD dst_unused:UNUSED_PAD src0_sel:WORD_1 src1_sel:DWORD
	s_waitcnt lgkmcnt(1)
	v_pk_fma_f16 v58, v48, v57, v66
	v_pk_fma_f16 v60, v49, v57, v60
	;; [unrolled: 1-line block ×4, first 2 shown]
	s_waitcnt lgkmcnt(0)
	v_pk_fma_f16 v63, v52, v57, v63
	v_pk_fma_f16 v64, v53, v57, v64
	;; [unrolled: 1-line block ×4, first 2 shown]
	ds_read2_b64 v[48:51], v47 offset1:32
	ds_read2_b64 v[52:55], v47 offset0:64 offset1:96
	v_mul_u32_u24_sdwa v57, v59, s34 dst_sel:DWORD dst_unused:UNUSED_PAD src0_sel:WORD_0 src1_sel:DWORD
	s_waitcnt lgkmcnt(1)
	v_pk_fma_f16 v58, v48, v57, v58
	v_pk_fma_f16 v60, v49, v57, v60
	;; [unrolled: 1-line block ×4, first 2 shown]
	s_waitcnt lgkmcnt(0)
	v_pk_fma_f16 v63, v52, v57, v63
	v_pk_fma_f16 v64, v53, v57, v64
	;; [unrolled: 1-line block ×4, first 2 shown]
	ds_read2_b64 v[48:51], v47 offset0:128 offset1:160
	ds_read2_b64 v[52:55], v47 offset0:192 offset1:224
	v_mul_u32_u24_sdwa v57, v59, s34 dst_sel:DWORD dst_unused:UNUSED_PAD src0_sel:WORD_1 src1_sel:DWORD
	s_waitcnt lgkmcnt(0)
	s_barrier
	v_pk_fma_f16 v66, v48, v57, v58
	v_pk_fma_f16 v60, v49, v57, v60
	v_add_co_u32_e32 v48, vcc, s8, v11
	v_mov_b32_e32 v49, s9
	v_addc_co_u32_e32 v49, vcc, v49, v12, vcc
	v_pk_fma_f16 v63, v52, v57, v63
	v_add_co_u32_e32 v52, vcc, v48, v36
	v_pk_fma_f16 v64, v53, v57, v64
	v_addc_co_u32_e32 v53, vcc, 0, v49, vcc
	v_pk_fma_f16 v61, v50, v57, v61
	v_pk_fma_f16 v62, v51, v57, v62
	global_load_dwordx4 v[48:51], v[52:53], off
	v_pk_fma_f16 v65, v54, v57, v65
	v_pk_fma_f16 v67, v55, v57, v56
	s_waitcnt vmcnt(0)
	ds_write_b128 v37, v[48:51]
	global_load_dwordx4 v[48:51], v[52:53], off offset:512
	s_waitcnt vmcnt(0)
	ds_write_b128 v38, v[48:51]
	v_add_co_u32_e32 v48, vcc, s8, v13
	v_mov_b32_e32 v49, s9
	v_addc_co_u32_e32 v49, vcc, v49, v14, vcc
	v_add_co_u32_e32 v52, vcc, v48, v36
	v_addc_co_u32_e32 v53, vcc, 0, v49, vcc
	global_load_dwordx4 v[48:51], v[52:53], off
	s_or_b32 s8, s6, 40
	s_mul_hi_i32 s9, s8, s15
	s_mul_i32 s8, s8, s15
	s_lshl_b64 s[8:9], s[8:9], 2
	s_add_u32 s8, s12, s8
	s_addc_u32 s9, s13, s9
	s_waitcnt vmcnt(0)
	ds_write_b128 v39, v[48:51]
	global_load_dwordx4 v[48:51], v[52:53], off offset:512
	s_waitcnt vmcnt(0)
	ds_write_b128 v40, v[48:51]
	s_waitcnt lgkmcnt(0)
	s_barrier
	ds_read2_b64 v[48:51], v26 offset1:32
	ds_read2_b64 v[52:55], v26 offset0:64 offset1:96
	ds_read_b128 v[56:59], v34 offset:64
	s_waitcnt lgkmcnt(0)
	v_mul_u32_u24_sdwa v68, v56, s34 dst_sel:DWORD dst_unused:UNUSED_PAD src0_sel:WORD_0 src1_sel:DWORD
	v_pk_fma_f16 v66, v48, v68, v66
	v_pk_fma_f16 v60, v49, v68, v60
	;; [unrolled: 1-line block ×8, first 2 shown]
	ds_read2_b64 v[48:51], v26 offset0:128 offset1:160
	ds_read2_b64 v[52:55], v26 offset0:192 offset1:224
	v_mul_u32_u24_sdwa v56, v56, s34 dst_sel:DWORD dst_unused:UNUSED_PAD src0_sel:WORD_1 src1_sel:DWORD
	s_waitcnt lgkmcnt(1)
	v_pk_fma_f16 v66, v48, v56, v66
	v_pk_fma_f16 v60, v49, v56, v60
	;; [unrolled: 1-line block ×4, first 2 shown]
	s_waitcnt lgkmcnt(0)
	v_pk_fma_f16 v63, v52, v56, v63
	v_pk_fma_f16 v64, v53, v56, v64
	;; [unrolled: 1-line block ×4, first 2 shown]
	ds_read2_b64 v[48:51], v16 offset1:32
	ds_read2_b64 v[52:55], v16 offset0:64 offset1:96
	v_mul_u32_u24_sdwa v67, v57, s34 dst_sel:DWORD dst_unused:UNUSED_PAD src0_sel:WORD_0 src1_sel:DWORD
	v_mul_u32_u24_sdwa v57, v57, s34 dst_sel:DWORD dst_unused:UNUSED_PAD src0_sel:WORD_1 src1_sel:DWORD
	s_waitcnt lgkmcnt(1)
	v_pk_fma_f16 v66, v48, v67, v66
	v_pk_fma_f16 v60, v49, v67, v60
	v_pk_fma_f16 v61, v50, v67, v61
	v_pk_fma_f16 v62, v51, v67, v62
	s_waitcnt lgkmcnt(0)
	v_pk_fma_f16 v63, v52, v67, v63
	v_pk_fma_f16 v64, v53, v67, v64
	;; [unrolled: 1-line block ×4, first 2 shown]
	ds_read2_b64 v[48:51], v16 offset0:128 offset1:160
	ds_read2_b64 v[52:55], v16 offset0:192 offset1:224
	s_waitcnt lgkmcnt(1)
	v_pk_fma_f16 v66, v48, v57, v66
	v_pk_fma_f16 v60, v49, v57, v60
	;; [unrolled: 1-line block ×4, first 2 shown]
	s_waitcnt lgkmcnt(0)
	v_pk_fma_f16 v63, v52, v57, v63
	v_pk_fma_f16 v64, v53, v57, v64
	;; [unrolled: 1-line block ×4, first 2 shown]
	ds_read2_b64 v[48:51], v46 offset1:32
	ds_read2_b64 v[52:55], v46 offset0:64 offset1:96
	v_mul_u32_u24_sdwa v57, v58, s34 dst_sel:DWORD dst_unused:UNUSED_PAD src0_sel:WORD_0 src1_sel:DWORD
	s_waitcnt lgkmcnt(1)
	v_pk_fma_f16 v66, v48, v57, v66
	v_pk_fma_f16 v60, v49, v57, v60
	;; [unrolled: 1-line block ×4, first 2 shown]
	s_waitcnt lgkmcnt(0)
	v_pk_fma_f16 v63, v52, v57, v63
	v_pk_fma_f16 v64, v53, v57, v64
	;; [unrolled: 1-line block ×4, first 2 shown]
	ds_read2_b64 v[48:51], v46 offset0:128 offset1:160
	ds_read2_b64 v[52:55], v46 offset0:192 offset1:224
	v_mul_u32_u24_sdwa v57, v58, s34 dst_sel:DWORD dst_unused:UNUSED_PAD src0_sel:WORD_1 src1_sel:DWORD
	s_waitcnt lgkmcnt(1)
	v_pk_fma_f16 v58, v48, v57, v66
	v_pk_fma_f16 v60, v49, v57, v60
	;; [unrolled: 1-line block ×4, first 2 shown]
	s_waitcnt lgkmcnt(0)
	v_pk_fma_f16 v63, v52, v57, v63
	v_pk_fma_f16 v64, v53, v57, v64
	;; [unrolled: 1-line block ×4, first 2 shown]
	ds_read2_b64 v[48:51], v47 offset1:32
	ds_read2_b64 v[52:55], v47 offset0:64 offset1:96
	v_mul_u32_u24_sdwa v57, v59, s34 dst_sel:DWORD dst_unused:UNUSED_PAD src0_sel:WORD_0 src1_sel:DWORD
	s_waitcnt lgkmcnt(1)
	v_pk_fma_f16 v58, v48, v57, v58
	v_pk_fma_f16 v60, v49, v57, v60
	;; [unrolled: 1-line block ×4, first 2 shown]
	s_waitcnt lgkmcnt(0)
	v_pk_fma_f16 v63, v52, v57, v63
	v_pk_fma_f16 v64, v53, v57, v64
	;; [unrolled: 1-line block ×4, first 2 shown]
	ds_read2_b64 v[48:51], v47 offset0:128 offset1:160
	ds_read2_b64 v[52:55], v47 offset0:192 offset1:224
	v_mul_u32_u24_sdwa v57, v59, s34 dst_sel:DWORD dst_unused:UNUSED_PAD src0_sel:WORD_1 src1_sel:DWORD
	s_waitcnt lgkmcnt(0)
	s_barrier
	v_pk_fma_f16 v66, v48, v57, v58
	v_pk_fma_f16 v60, v49, v57, v60
	v_add_co_u32_e32 v48, vcc, s8, v11
	v_mov_b32_e32 v49, s9
	v_addc_co_u32_e32 v49, vcc, v49, v12, vcc
	v_pk_fma_f16 v63, v52, v57, v63
	v_add_co_u32_e32 v52, vcc, v48, v36
	v_pk_fma_f16 v64, v53, v57, v64
	v_addc_co_u32_e32 v53, vcc, 0, v49, vcc
	v_pk_fma_f16 v61, v50, v57, v61
	v_pk_fma_f16 v62, v51, v57, v62
	global_load_dwordx4 v[48:51], v[52:53], off
	v_pk_fma_f16 v65, v54, v57, v65
	v_pk_fma_f16 v67, v55, v57, v56
	s_waitcnt vmcnt(0)
	ds_write_b128 v37, v[48:51]
	global_load_dwordx4 v[48:51], v[52:53], off offset:512
	s_waitcnt vmcnt(0)
	ds_write_b128 v38, v[48:51]
	v_add_co_u32_e32 v48, vcc, s8, v13
	v_mov_b32_e32 v49, s9
	v_addc_co_u32_e32 v49, vcc, v49, v14, vcc
	v_add_co_u32_e32 v52, vcc, v48, v36
	v_addc_co_u32_e32 v53, vcc, 0, v49, vcc
	global_load_dwordx4 v[48:51], v[52:53], off
	s_or_b32 s8, s6, 48
	s_mul_hi_i32 s9, s8, s15
	s_mul_i32 s8, s8, s15
	s_lshl_b64 s[8:9], s[8:9], 2
	s_add_u32 s8, s12, s8
	s_addc_u32 s9, s13, s9
	s_waitcnt vmcnt(0)
	ds_write_b128 v39, v[48:51]
	global_load_dwordx4 v[48:51], v[52:53], off offset:512
	s_waitcnt vmcnt(0)
	ds_write_b128 v40, v[48:51]
	s_waitcnt lgkmcnt(0)
	s_barrier
	ds_read2_b64 v[48:51], v26 offset1:32
	ds_read2_b64 v[52:55], v26 offset0:64 offset1:96
	ds_read_b128 v[56:59], v34 offset:80
	s_waitcnt lgkmcnt(0)
	v_mul_u32_u24_sdwa v68, v56, s34 dst_sel:DWORD dst_unused:UNUSED_PAD src0_sel:WORD_0 src1_sel:DWORD
	v_pk_fma_f16 v66, v48, v68, v66
	v_pk_fma_f16 v60, v49, v68, v60
	;; [unrolled: 1-line block ×8, first 2 shown]
	ds_read2_b64 v[48:51], v26 offset0:128 offset1:160
	ds_read2_b64 v[52:55], v26 offset0:192 offset1:224
	v_mul_u32_u24_sdwa v56, v56, s34 dst_sel:DWORD dst_unused:UNUSED_PAD src0_sel:WORD_1 src1_sel:DWORD
	s_waitcnt lgkmcnt(1)
	v_pk_fma_f16 v66, v48, v56, v66
	v_pk_fma_f16 v60, v49, v56, v60
	;; [unrolled: 1-line block ×4, first 2 shown]
	s_waitcnt lgkmcnt(0)
	v_pk_fma_f16 v63, v52, v56, v63
	v_pk_fma_f16 v64, v53, v56, v64
	;; [unrolled: 1-line block ×4, first 2 shown]
	ds_read2_b64 v[48:51], v16 offset1:32
	ds_read2_b64 v[52:55], v16 offset0:64 offset1:96
	v_mul_u32_u24_sdwa v67, v57, s34 dst_sel:DWORD dst_unused:UNUSED_PAD src0_sel:WORD_0 src1_sel:DWORD
	v_mul_u32_u24_sdwa v57, v57, s34 dst_sel:DWORD dst_unused:UNUSED_PAD src0_sel:WORD_1 src1_sel:DWORD
	s_waitcnt lgkmcnt(1)
	v_pk_fma_f16 v66, v48, v67, v66
	v_pk_fma_f16 v60, v49, v67, v60
	;; [unrolled: 1-line block ×4, first 2 shown]
	s_waitcnt lgkmcnt(0)
	v_pk_fma_f16 v63, v52, v67, v63
	v_pk_fma_f16 v64, v53, v67, v64
	;; [unrolled: 1-line block ×4, first 2 shown]
	ds_read2_b64 v[48:51], v16 offset0:128 offset1:160
	ds_read2_b64 v[52:55], v16 offset0:192 offset1:224
	s_waitcnt lgkmcnt(1)
	v_pk_fma_f16 v66, v48, v57, v66
	v_pk_fma_f16 v60, v49, v57, v60
	;; [unrolled: 1-line block ×4, first 2 shown]
	s_waitcnt lgkmcnt(0)
	v_pk_fma_f16 v63, v52, v57, v63
	v_pk_fma_f16 v64, v53, v57, v64
	;; [unrolled: 1-line block ×4, first 2 shown]
	ds_read2_b64 v[48:51], v46 offset1:32
	ds_read2_b64 v[52:55], v46 offset0:64 offset1:96
	v_mul_u32_u24_sdwa v57, v58, s34 dst_sel:DWORD dst_unused:UNUSED_PAD src0_sel:WORD_0 src1_sel:DWORD
	s_waitcnt lgkmcnt(1)
	v_pk_fma_f16 v66, v48, v57, v66
	v_pk_fma_f16 v60, v49, v57, v60
	;; [unrolled: 1-line block ×4, first 2 shown]
	s_waitcnt lgkmcnt(0)
	v_pk_fma_f16 v63, v52, v57, v63
	v_pk_fma_f16 v64, v53, v57, v64
	;; [unrolled: 1-line block ×4, first 2 shown]
	ds_read2_b64 v[48:51], v46 offset0:128 offset1:160
	ds_read2_b64 v[52:55], v46 offset0:192 offset1:224
	v_mul_u32_u24_sdwa v57, v58, s34 dst_sel:DWORD dst_unused:UNUSED_PAD src0_sel:WORD_1 src1_sel:DWORD
	s_waitcnt lgkmcnt(1)
	v_pk_fma_f16 v58, v48, v57, v66
	v_pk_fma_f16 v60, v49, v57, v60
	;; [unrolled: 1-line block ×4, first 2 shown]
	s_waitcnt lgkmcnt(0)
	v_pk_fma_f16 v63, v52, v57, v63
	v_pk_fma_f16 v64, v53, v57, v64
	v_pk_fma_f16 v65, v54, v57, v65
	v_pk_fma_f16 v56, v55, v57, v56
	ds_read2_b64 v[48:51], v47 offset1:32
	ds_read2_b64 v[52:55], v47 offset0:64 offset1:96
	v_mul_u32_u24_sdwa v57, v59, s34 dst_sel:DWORD dst_unused:UNUSED_PAD src0_sel:WORD_0 src1_sel:DWORD
	s_waitcnt lgkmcnt(1)
	v_pk_fma_f16 v58, v48, v57, v58
	v_pk_fma_f16 v60, v49, v57, v60
	;; [unrolled: 1-line block ×4, first 2 shown]
	s_waitcnt lgkmcnt(0)
	v_pk_fma_f16 v63, v52, v57, v63
	v_pk_fma_f16 v64, v53, v57, v64
	;; [unrolled: 1-line block ×4, first 2 shown]
	ds_read2_b64 v[48:51], v47 offset0:128 offset1:160
	ds_read2_b64 v[52:55], v47 offset0:192 offset1:224
	v_mul_u32_u24_sdwa v57, v59, s34 dst_sel:DWORD dst_unused:UNUSED_PAD src0_sel:WORD_1 src1_sel:DWORD
	s_waitcnt lgkmcnt(0)
	s_barrier
	v_pk_fma_f16 v66, v48, v57, v58
	v_pk_fma_f16 v60, v49, v57, v60
	v_add_co_u32_e32 v48, vcc, s8, v11
	v_mov_b32_e32 v49, s9
	v_addc_co_u32_e32 v49, vcc, v49, v12, vcc
	v_pk_fma_f16 v63, v52, v57, v63
	v_add_co_u32_e32 v52, vcc, v48, v36
	v_pk_fma_f16 v64, v53, v57, v64
	v_addc_co_u32_e32 v53, vcc, 0, v49, vcc
	v_pk_fma_f16 v61, v50, v57, v61
	v_pk_fma_f16 v62, v51, v57, v62
	global_load_dwordx4 v[48:51], v[52:53], off
	v_pk_fma_f16 v65, v54, v57, v65
	v_pk_fma_f16 v67, v55, v57, v56
	s_waitcnt vmcnt(0)
	ds_write_b128 v37, v[48:51]
	global_load_dwordx4 v[48:51], v[52:53], off offset:512
	s_waitcnt vmcnt(0)
	ds_write_b128 v38, v[48:51]
	v_add_co_u32_e32 v48, vcc, s8, v13
	v_mov_b32_e32 v49, s9
	v_addc_co_u32_e32 v49, vcc, v49, v14, vcc
	v_add_co_u32_e32 v52, vcc, v48, v36
	v_addc_co_u32_e32 v53, vcc, 0, v49, vcc
	global_load_dwordx4 v[48:51], v[52:53], off
	s_or_b32 s8, s6, 56
	s_mul_hi_i32 s9, s8, s15
	s_mul_i32 s8, s8, s15
	s_lshl_b64 s[8:9], s[8:9], 2
	s_add_u32 s8, s12, s8
	s_addc_u32 s9, s13, s9
	s_waitcnt vmcnt(0)
	ds_write_b128 v39, v[48:51]
	global_load_dwordx4 v[48:51], v[52:53], off offset:512
	s_waitcnt vmcnt(0)
	ds_write_b128 v40, v[48:51]
	s_waitcnt lgkmcnt(0)
	s_barrier
	ds_read2_b64 v[48:51], v26 offset1:32
	ds_read2_b64 v[52:55], v26 offset0:64 offset1:96
	ds_read_b128 v[56:59], v34 offset:96
	s_waitcnt lgkmcnt(0)
	v_mul_u32_u24_sdwa v68, v56, s34 dst_sel:DWORD dst_unused:UNUSED_PAD src0_sel:WORD_0 src1_sel:DWORD
	v_pk_fma_f16 v66, v48, v68, v66
	v_pk_fma_f16 v60, v49, v68, v60
	;; [unrolled: 1-line block ×8, first 2 shown]
	ds_read2_b64 v[48:51], v26 offset0:128 offset1:160
	ds_read2_b64 v[52:55], v26 offset0:192 offset1:224
	v_mul_u32_u24_sdwa v56, v56, s34 dst_sel:DWORD dst_unused:UNUSED_PAD src0_sel:WORD_1 src1_sel:DWORD
	s_waitcnt lgkmcnt(1)
	v_pk_fma_f16 v66, v48, v56, v66
	v_pk_fma_f16 v60, v49, v56, v60
	;; [unrolled: 1-line block ×4, first 2 shown]
	s_waitcnt lgkmcnt(0)
	v_pk_fma_f16 v63, v52, v56, v63
	v_pk_fma_f16 v64, v53, v56, v64
	;; [unrolled: 1-line block ×4, first 2 shown]
	ds_read2_b64 v[48:51], v16 offset1:32
	ds_read2_b64 v[52:55], v16 offset0:64 offset1:96
	v_mul_u32_u24_sdwa v67, v57, s34 dst_sel:DWORD dst_unused:UNUSED_PAD src0_sel:WORD_0 src1_sel:DWORD
	v_mul_u32_u24_sdwa v57, v57, s34 dst_sel:DWORD dst_unused:UNUSED_PAD src0_sel:WORD_1 src1_sel:DWORD
	s_waitcnt lgkmcnt(1)
	v_pk_fma_f16 v66, v48, v67, v66
	v_pk_fma_f16 v60, v49, v67, v60
	v_pk_fma_f16 v61, v50, v67, v61
	v_pk_fma_f16 v62, v51, v67, v62
	s_waitcnt lgkmcnt(0)
	v_pk_fma_f16 v63, v52, v67, v63
	v_pk_fma_f16 v64, v53, v67, v64
	;; [unrolled: 1-line block ×4, first 2 shown]
	ds_read2_b64 v[48:51], v16 offset0:128 offset1:160
	ds_read2_b64 v[52:55], v16 offset0:192 offset1:224
	s_waitcnt lgkmcnt(1)
	v_pk_fma_f16 v66, v48, v57, v66
	v_pk_fma_f16 v60, v49, v57, v60
	;; [unrolled: 1-line block ×4, first 2 shown]
	s_waitcnt lgkmcnt(0)
	v_pk_fma_f16 v63, v52, v57, v63
	v_pk_fma_f16 v64, v53, v57, v64
	;; [unrolled: 1-line block ×4, first 2 shown]
	ds_read2_b64 v[48:51], v46 offset1:32
	ds_read2_b64 v[52:55], v46 offset0:64 offset1:96
	v_mul_u32_u24_sdwa v57, v58, s34 dst_sel:DWORD dst_unused:UNUSED_PAD src0_sel:WORD_0 src1_sel:DWORD
	s_waitcnt lgkmcnt(1)
	v_pk_fma_f16 v66, v48, v57, v66
	v_pk_fma_f16 v60, v49, v57, v60
	;; [unrolled: 1-line block ×4, first 2 shown]
	s_waitcnt lgkmcnt(0)
	v_pk_fma_f16 v63, v52, v57, v63
	v_pk_fma_f16 v64, v53, v57, v64
	;; [unrolled: 1-line block ×4, first 2 shown]
	ds_read2_b64 v[48:51], v46 offset0:128 offset1:160
	ds_read2_b64 v[52:55], v46 offset0:192 offset1:224
	v_mul_u32_u24_sdwa v57, v58, s34 dst_sel:DWORD dst_unused:UNUSED_PAD src0_sel:WORD_1 src1_sel:DWORD
	s_waitcnt lgkmcnt(1)
	v_pk_fma_f16 v58, v48, v57, v66
	v_pk_fma_f16 v60, v49, v57, v60
	v_pk_fma_f16 v61, v50, v57, v61
	v_pk_fma_f16 v62, v51, v57, v62
	s_waitcnt lgkmcnt(0)
	v_pk_fma_f16 v63, v52, v57, v63
	v_pk_fma_f16 v64, v53, v57, v64
	;; [unrolled: 1-line block ×4, first 2 shown]
	ds_read2_b64 v[48:51], v47 offset1:32
	ds_read2_b64 v[52:55], v47 offset0:64 offset1:96
	v_mul_u32_u24_sdwa v57, v59, s34 dst_sel:DWORD dst_unused:UNUSED_PAD src0_sel:WORD_0 src1_sel:DWORD
	s_waitcnt lgkmcnt(1)
	v_pk_fma_f16 v58, v48, v57, v58
	v_pk_fma_f16 v60, v49, v57, v60
	;; [unrolled: 1-line block ×4, first 2 shown]
	s_waitcnt lgkmcnt(0)
	v_pk_fma_f16 v63, v52, v57, v63
	v_pk_fma_f16 v64, v53, v57, v64
	;; [unrolled: 1-line block ×4, first 2 shown]
	ds_read2_b64 v[48:51], v47 offset0:128 offset1:160
	ds_read2_b64 v[52:55], v47 offset0:192 offset1:224
	v_mul_u32_u24_sdwa v57, v59, s34 dst_sel:DWORD dst_unused:UNUSED_PAD src0_sel:WORD_1 src1_sel:DWORD
	s_waitcnt lgkmcnt(0)
	s_barrier
	v_pk_fma_f16 v66, v48, v57, v58
	v_pk_fma_f16 v60, v49, v57, v60
	v_add_co_u32_e32 v48, vcc, s8, v11
	v_mov_b32_e32 v49, s9
	v_addc_co_u32_e32 v49, vcc, v49, v12, vcc
	v_pk_fma_f16 v63, v52, v57, v63
	v_add_co_u32_e32 v52, vcc, v48, v36
	v_pk_fma_f16 v64, v53, v57, v64
	v_addc_co_u32_e32 v53, vcc, 0, v49, vcc
	v_pk_fma_f16 v61, v50, v57, v61
	v_pk_fma_f16 v62, v51, v57, v62
	global_load_dwordx4 v[48:51], v[52:53], off
	v_pk_fma_f16 v65, v54, v57, v65
	v_pk_fma_f16 v67, v55, v57, v56
	s_waitcnt vmcnt(0)
	ds_write_b128 v37, v[48:51]
	global_load_dwordx4 v[48:51], v[52:53], off offset:512
	s_waitcnt vmcnt(0)
	ds_write_b128 v38, v[48:51]
	v_add_co_u32_e32 v48, vcc, s8, v13
	v_mov_b32_e32 v49, s9
	v_addc_co_u32_e32 v49, vcc, v49, v14, vcc
	v_add_co_u32_e32 v52, vcc, v48, v36
	v_addc_co_u32_e32 v53, vcc, 0, v49, vcc
	global_load_dwordx4 v[48:51], v[52:53], off
	s_waitcnt vmcnt(0)
	ds_write_b128 v39, v[48:51]
	global_load_dwordx4 v[48:51], v[52:53], off offset:512
	s_waitcnt vmcnt(0)
	ds_write_b128 v40, v[48:51]
	s_waitcnt lgkmcnt(0)
	s_barrier
	ds_read2_b64 v[48:51], v26 offset1:32
	ds_read2_b64 v[52:55], v26 offset0:64 offset1:96
	ds_read_b128 v[56:59], v34 offset:112
	s_waitcnt lgkmcnt(0)
	v_mul_u32_u24_sdwa v68, v56, s34 dst_sel:DWORD dst_unused:UNUSED_PAD src0_sel:WORD_0 src1_sel:DWORD
	v_pk_fma_f16 v66, v48, v68, v66
	v_pk_fma_f16 v60, v49, v68, v60
	v_pk_fma_f16 v61, v50, v68, v61
	v_pk_fma_f16 v62, v51, v68, v62
	v_pk_fma_f16 v63, v52, v68, v63
	v_pk_fma_f16 v64, v53, v68, v64
	v_pk_fma_f16 v65, v54, v68, v65
	v_pk_fma_f16 v67, v55, v68, v67
	ds_read2_b64 v[48:51], v26 offset0:128 offset1:160
	ds_read2_b64 v[52:55], v26 offset0:192 offset1:224
	v_mul_u32_u24_sdwa v56, v56, s34 dst_sel:DWORD dst_unused:UNUSED_PAD src0_sel:WORD_1 src1_sel:DWORD
	s_waitcnt lgkmcnt(1)
	v_pk_fma_f16 v66, v48, v56, v66
	v_pk_fma_f16 v60, v49, v56, v60
	;; [unrolled: 1-line block ×4, first 2 shown]
	s_waitcnt lgkmcnt(0)
	v_pk_fma_f16 v63, v52, v56, v63
	v_pk_fma_f16 v64, v53, v56, v64
	;; [unrolled: 1-line block ×4, first 2 shown]
	ds_read2_b64 v[48:51], v16 offset1:32
	ds_read2_b64 v[52:55], v16 offset0:64 offset1:96
	v_mul_u32_u24_sdwa v67, v57, s34 dst_sel:DWORD dst_unused:UNUSED_PAD src0_sel:WORD_0 src1_sel:DWORD
	s_waitcnt lgkmcnt(1)
	v_pk_fma_f16 v66, v48, v67, v66
	v_pk_fma_f16 v60, v49, v67, v60
	;; [unrolled: 1-line block ×4, first 2 shown]
	s_waitcnt lgkmcnt(0)
	v_pk_fma_f16 v63, v52, v67, v63
	v_pk_fma_f16 v64, v53, v67, v64
	;; [unrolled: 1-line block ×4, first 2 shown]
	ds_read2_b64 v[48:51], v16 offset0:128 offset1:160
	ds_read2_b64 v[52:55], v16 offset0:192 offset1:224
	v_mul_u32_u24_sdwa v16, v57, s34 dst_sel:DWORD dst_unused:UNUSED_PAD src0_sel:WORD_1 src1_sel:DWORD
	s_waitcnt lgkmcnt(1)
	v_pk_fma_f16 v57, v48, v16, v66
	v_pk_fma_f16 v60, v49, v16, v60
	;; [unrolled: 1-line block ×4, first 2 shown]
	s_waitcnt lgkmcnt(0)
	v_pk_fma_f16 v63, v52, v16, v63
	v_pk_fma_f16 v64, v53, v16, v64
	;; [unrolled: 1-line block ×4, first 2 shown]
	ds_read2_b64 v[48:51], v46 offset1:32
	ds_read2_b64 v[52:55], v46 offset0:64 offset1:96
	v_mul_u32_u24_sdwa v56, v58, s34 dst_sel:DWORD dst_unused:UNUSED_PAD src0_sel:WORD_0 src1_sel:DWORD
	s_waitcnt lgkmcnt(1)
	v_pk_fma_f16 v57, v48, v56, v57
	v_pk_fma_f16 v60, v49, v56, v60
	;; [unrolled: 1-line block ×4, first 2 shown]
	s_waitcnt lgkmcnt(0)
	v_pk_fma_f16 v63, v52, v56, v63
	v_pk_fma_f16 v64, v53, v56, v64
	v_pk_fma_f16 v65, v54, v56, v65
	v_pk_fma_f16 v16, v55, v56, v16
	ds_read2_b64 v[48:51], v46 offset0:128 offset1:160
	ds_read2_b64 v[52:55], v46 offset0:192 offset1:224
	v_mul_u32_u24_sdwa v46, v58, s34 dst_sel:DWORD dst_unused:UNUSED_PAD src0_sel:WORD_1 src1_sel:DWORD
	s_waitcnt lgkmcnt(1)
	v_pk_fma_f16 v56, v48, v46, v57
	v_pk_fma_f16 v57, v49, v46, v60
	;; [unrolled: 1-line block ×4, first 2 shown]
	s_waitcnt lgkmcnt(0)
	v_pk_fma_f16 v61, v52, v46, v63
	v_pk_fma_f16 v62, v53, v46, v64
	;; [unrolled: 1-line block ×4, first 2 shown]
	ds_read2_b64 v[48:51], v47 offset1:32
	ds_read2_b64 v[52:55], v47 offset0:64 offset1:96
	v_mul_u32_u24_sdwa v46, v59, s34 dst_sel:DWORD dst_unused:UNUSED_PAD src0_sel:WORD_0 src1_sel:DWORD
	v_mul_u32_u24_sdwa v59, v59, s34 dst_sel:DWORD dst_unused:UNUSED_PAD src0_sel:WORD_1 src1_sel:DWORD
	s_waitcnt lgkmcnt(1)
	v_pk_fma_f16 v64, v48, v46, v56
	v_pk_fma_f16 v65, v49, v46, v57
	v_pk_fma_f16 v58, v50, v46, v58
	v_pk_fma_f16 v60, v51, v46, v60
	s_waitcnt lgkmcnt(0)
	v_pk_fma_f16 v63, v54, v46, v63
	v_pk_fma_f16 v16, v55, v46, v16
	ds_read2_b64 v[48:51], v47 offset0:128 offset1:160
	ds_read2_b64 v[54:57], v47 offset0:192 offset1:224
	s_waitcnt lgkmcnt(0)
	s_barrier
	s_load_dword s8, s[0:1], 0x4
	v_pk_fma_f16 v61, v52, v46, v61
	v_pk_fma_f16 v62, v53, v46, v62
	;; [unrolled: 1-line block ×4, first 2 shown]
	s_waitcnt lgkmcnt(0)
	s_lshl_b32 s8, s8, 6
	s_add_i32 s6, s8, s6
	v_pk_fma_f16 v52, v50, v59, v58
	v_pk_fma_f16 v53, v51, v59, v60
	;; [unrolled: 1-line block ×6, first 2 shown]
	s_cmp_ge_i32 s6, s28
	s_cbranch_scc1 .LBB28_9
; %bb.25:                               ;   in Loop: Header=BB28_16 Depth=1
	v_mov_b32_e32 v55, v1
	v_mov_b32_e32 v54, v15
	s_branch .LBB28_16
	.section	.rodata,"a",@progbits
	.p2align	6, 0x0
	.amdhsa_kernel _ZL15flash_attn_tileILi576ELi512ELi1ELi4ELb1EEvPKcS1_S1_S1_S1_PKiPfP15HIP_vector_typeIfLj2EEffffjfiS5_IjLj3EEiiiiiiiiiiiliiliiiiil
		.amdhsa_group_segment_fixed_size 14336
		.amdhsa_private_segment_fixed_size 0
		.amdhsa_kernarg_size 464
		.amdhsa_user_sgpr_count 6
		.amdhsa_user_sgpr_private_segment_buffer 1
		.amdhsa_user_sgpr_dispatch_ptr 0
		.amdhsa_user_sgpr_queue_ptr 0
		.amdhsa_user_sgpr_kernarg_segment_ptr 1
		.amdhsa_user_sgpr_dispatch_id 0
		.amdhsa_user_sgpr_flat_scratch_init 0
		.amdhsa_user_sgpr_private_segment_size 0
		.amdhsa_uses_dynamic_stack 0
		.amdhsa_system_sgpr_private_segment_wavefront_offset 0
		.amdhsa_system_sgpr_workgroup_id_x 1
		.amdhsa_system_sgpr_workgroup_id_y 1
		.amdhsa_system_sgpr_workgroup_id_z 1
		.amdhsa_system_sgpr_workgroup_info 0
		.amdhsa_system_vgpr_workitem_id 1
		.amdhsa_next_free_vgpr 85
		.amdhsa_next_free_sgpr 98
		.amdhsa_reserve_vcc 1
		.amdhsa_reserve_flat_scratch 0
		.amdhsa_float_round_mode_32 0
		.amdhsa_float_round_mode_16_64 0
		.amdhsa_float_denorm_mode_32 3
		.amdhsa_float_denorm_mode_16_64 3
		.amdhsa_dx10_clamp 1
		.amdhsa_ieee_mode 1
		.amdhsa_fp16_overflow 0
		.amdhsa_exception_fp_ieee_invalid_op 0
		.amdhsa_exception_fp_denorm_src 0
		.amdhsa_exception_fp_ieee_div_zero 0
		.amdhsa_exception_fp_ieee_overflow 0
		.amdhsa_exception_fp_ieee_underflow 0
		.amdhsa_exception_fp_ieee_inexact 0
		.amdhsa_exception_int_div_zero 0
	.end_amdhsa_kernel
	.section	.text._ZL15flash_attn_tileILi576ELi512ELi1ELi4ELb1EEvPKcS1_S1_S1_S1_PKiPfP15HIP_vector_typeIfLj2EEffffjfiS5_IjLj3EEiiiiiiiiiiiliiliiiiil,"axG",@progbits,_ZL15flash_attn_tileILi576ELi512ELi1ELi4ELb1EEvPKcS1_S1_S1_S1_PKiPfP15HIP_vector_typeIfLj2EEffffjfiS5_IjLj3EEiiiiiiiiiiiliiliiiiil,comdat
.Lfunc_end28:
	.size	_ZL15flash_attn_tileILi576ELi512ELi1ELi4ELb1EEvPKcS1_S1_S1_S1_PKiPfP15HIP_vector_typeIfLj2EEffffjfiS5_IjLj3EEiiiiiiiiiiiliiliiiiil, .Lfunc_end28-_ZL15flash_attn_tileILi576ELi512ELi1ELi4ELb1EEvPKcS1_S1_S1_S1_PKiPfP15HIP_vector_typeIfLj2EEffffjfiS5_IjLj3EEiiiiiiiiiiiliiliiiiil
                                        ; -- End function
	.set _ZL15flash_attn_tileILi576ELi512ELi1ELi4ELb1EEvPKcS1_S1_S1_S1_PKiPfP15HIP_vector_typeIfLj2EEffffjfiS5_IjLj3EEiiiiiiiiiiiliiliiiiil.num_vgpr, 73
	.set _ZL15flash_attn_tileILi576ELi512ELi1ELi4ELb1EEvPKcS1_S1_S1_S1_PKiPfP15HIP_vector_typeIfLj2EEffffjfiS5_IjLj3EEiiiiiiiiiiiliiliiiiil.num_agpr, 0
	.set _ZL15flash_attn_tileILi576ELi512ELi1ELi4ELb1EEvPKcS1_S1_S1_S1_PKiPfP15HIP_vector_typeIfLj2EEffffjfiS5_IjLj3EEiiiiiiiiiiiliiliiiiil.numbered_sgpr, 41
	.set _ZL15flash_attn_tileILi576ELi512ELi1ELi4ELb1EEvPKcS1_S1_S1_S1_PKiPfP15HIP_vector_typeIfLj2EEffffjfiS5_IjLj3EEiiiiiiiiiiiliiliiiiil.num_named_barrier, 0
	.set _ZL15flash_attn_tileILi576ELi512ELi1ELi4ELb1EEvPKcS1_S1_S1_S1_PKiPfP15HIP_vector_typeIfLj2EEffffjfiS5_IjLj3EEiiiiiiiiiiiliiliiiiil.private_seg_size, 0
	.set _ZL15flash_attn_tileILi576ELi512ELi1ELi4ELb1EEvPKcS1_S1_S1_S1_PKiPfP15HIP_vector_typeIfLj2EEffffjfiS5_IjLj3EEiiiiiiiiiiiliiliiiiil.uses_vcc, 1
	.set _ZL15flash_attn_tileILi576ELi512ELi1ELi4ELb1EEvPKcS1_S1_S1_S1_PKiPfP15HIP_vector_typeIfLj2EEffffjfiS5_IjLj3EEiiiiiiiiiiiliiliiiiil.uses_flat_scratch, 0
	.set _ZL15flash_attn_tileILi576ELi512ELi1ELi4ELb1EEvPKcS1_S1_S1_S1_PKiPfP15HIP_vector_typeIfLj2EEffffjfiS5_IjLj3EEiiiiiiiiiiiliiliiiiil.has_dyn_sized_stack, 0
	.set _ZL15flash_attn_tileILi576ELi512ELi1ELi4ELb1EEvPKcS1_S1_S1_S1_PKiPfP15HIP_vector_typeIfLj2EEffffjfiS5_IjLj3EEiiiiiiiiiiiliiliiiiil.has_recursion, 0
	.set _ZL15flash_attn_tileILi576ELi512ELi1ELi4ELb1EEvPKcS1_S1_S1_S1_PKiPfP15HIP_vector_typeIfLj2EEffffjfiS5_IjLj3EEiiiiiiiiiiiliiliiiiil.has_indirect_call, 0
	.section	.AMDGPU.csdata,"",@progbits
; Kernel info:
; codeLenInByte = 19244
; TotalNumSgprs: 45
; NumVgprs: 73
; ScratchSize: 0
; MemoryBound: 0
; FloatMode: 240
; IeeeMode: 1
; LDSByteSize: 14336 bytes/workgroup (compile time only)
; SGPRBlocks: 12
; VGPRBlocks: 21
; NumSGPRsForWavesPerEU: 102
; NumVGPRsForWavesPerEU: 85
; Occupancy: 2
; WaveLimiterHint : 1
; COMPUTE_PGM_RSRC2:SCRATCH_EN: 0
; COMPUTE_PGM_RSRC2:USER_SGPR: 6
; COMPUTE_PGM_RSRC2:TRAP_HANDLER: 0
; COMPUTE_PGM_RSRC2:TGID_X_EN: 1
; COMPUTE_PGM_RSRC2:TGID_Y_EN: 1
; COMPUTE_PGM_RSRC2:TGID_Z_EN: 1
; COMPUTE_PGM_RSRC2:TIDIG_COMP_CNT: 1
	.section	.AMDGPU.gpr_maximums,"",@progbits
	.set amdgpu.max_num_vgpr, 0
	.set amdgpu.max_num_agpr, 0
	.set amdgpu.max_num_sgpr, 0
	.section	.AMDGPU.csdata,"",@progbits
	.type	__hip_cuid_8bc8d5775a14cd7d,@object ; @__hip_cuid_8bc8d5775a14cd7d
	.section	.bss,"aw",@nobits
	.globl	__hip_cuid_8bc8d5775a14cd7d
__hip_cuid_8bc8d5775a14cd7d:
	.byte	0                               ; 0x0
	.size	__hip_cuid_8bc8d5775a14cd7d, 1

	.ident	"AMD clang version 22.0.0git (https://github.com/RadeonOpenCompute/llvm-project roc-7.2.4 26084 f58b06dce1f9c15707c5f808fd002e18c2accf7e)"
	.section	".note.GNU-stack","",@progbits
	.addrsig
	.addrsig_sym __hip_cuid_8bc8d5775a14cd7d
	.amdgpu_metadata
---
amdhsa.kernels:
  - .args:
      - .address_space:  global
        .offset:         0
        .size:           8
        .value_kind:     global_buffer
      - .address_space:  global
        .offset:         8
        .size:           8
        .value_kind:     global_buffer
      - .address_space:  global
        .offset:         16
        .size:           8
        .value_kind:     global_buffer
      - .address_space:  global
        .offset:         24
        .size:           8
        .value_kind:     global_buffer
      - .address_space:  global
        .offset:         32
        .size:           8
        .value_kind:     global_buffer
      - .address_space:  global
        .offset:         40
        .size:           8
        .value_kind:     global_buffer
      - .address_space:  global
        .offset:         48
        .size:           8
        .value_kind:     global_buffer
      - .address_space:  global
        .offset:         56
        .size:           8
        .value_kind:     global_buffer
      - .offset:         64
        .size:           4
        .value_kind:     by_value
      - .offset:         68
        .size:           4
        .value_kind:     by_value
      - .offset:         72
        .size:           4
        .value_kind:     by_value
      - .offset:         76
        .size:           4
        .value_kind:     by_value
      - .offset:         80
        .size:           4
        .value_kind:     by_value
      - .offset:         84
        .size:           4
        .value_kind:     by_value
      - .offset:         88
        .size:           4
        .value_kind:     by_value
      - .offset:         92
        .size:           12
        .value_kind:     by_value
      - .offset:         104
        .size:           4
        .value_kind:     by_value
      - .offset:         108
        .size:           4
        .value_kind:     by_value
      - .offset:         112
        .size:           4
        .value_kind:     by_value
      - .offset:         116
        .size:           4
        .value_kind:     by_value
      - .offset:         120
        .size:           4
        .value_kind:     by_value
      - .offset:         124
        .size:           4
        .value_kind:     by_value
      - .offset:         128
        .size:           4
        .value_kind:     by_value
      - .offset:         132
        .size:           4
        .value_kind:     by_value
      - .offset:         136
        .size:           4
        .value_kind:     by_value
      - .offset:         140
        .size:           4
        .value_kind:     by_value
      - .offset:         144
        .size:           4
        .value_kind:     by_value
      - .offset:         152
        .size:           8
        .value_kind:     by_value
      - .offset:         160
        .size:           4
        .value_kind:     by_value
      - .offset:         164
        .size:           4
        .value_kind:     by_value
      - .offset:         168
        .size:           8
        .value_kind:     by_value
      - .offset:         176
        .size:           4
        .value_kind:     by_value
      - .offset:         180
        .size:           4
        .value_kind:     by_value
      - .offset:         184
        .size:           4
        .value_kind:     by_value
      - .offset:         188
        .size:           4
        .value_kind:     by_value
      - .offset:         192
        .size:           4
        .value_kind:     by_value
      - .offset:         200
        .size:           8
        .value_kind:     by_value
      - .offset:         208
        .size:           4
        .value_kind:     hidden_block_count_x
      - .offset:         212
        .size:           4
        .value_kind:     hidden_block_count_y
      - .offset:         216
        .size:           4
        .value_kind:     hidden_block_count_z
      - .offset:         220
        .size:           2
        .value_kind:     hidden_group_size_x
      - .offset:         222
        .size:           2
        .value_kind:     hidden_group_size_y
      - .offset:         224
        .size:           2
        .value_kind:     hidden_group_size_z
      - .offset:         226
        .size:           2
        .value_kind:     hidden_remainder_x
      - .offset:         228
        .size:           2
        .value_kind:     hidden_remainder_y
      - .offset:         230
        .size:           2
        .value_kind:     hidden_remainder_z
      - .offset:         248
        .size:           8
        .value_kind:     hidden_global_offset_x
      - .offset:         256
        .size:           8
        .value_kind:     hidden_global_offset_y
      - .offset:         264
        .size:           8
        .value_kind:     hidden_global_offset_z
      - .offset:         272
        .size:           2
        .value_kind:     hidden_grid_dims
    .group_segment_fixed_size: 63488
    .kernarg_segment_align: 8
    .kernarg_segment_size: 464
    .language:       OpenCL C
    .language_version:
      - 2
      - 0
    .max_flat_workgroup_size: 512
    .name:           _ZL15flash_attn_tileILi576ELi512ELi2ELi16ELb0EEvPKcS1_S1_S1_S1_PKiPfP15HIP_vector_typeIfLj2EEffffjfiS5_IjLj3EEiiiiiiiiiiiliiliiiiil
    .private_segment_fixed_size: 0
    .sgpr_count:     44
    .sgpr_spill_count: 0
    .symbol:         _ZL15flash_attn_tileILi576ELi512ELi2ELi16ELb0EEvPKcS1_S1_S1_S1_PKiPfP15HIP_vector_typeIfLj2EEffffjfiS5_IjLj3EEiiiiiiiiiiiliiliiiiil.kd
    .uniform_work_group_size: 1
    .uses_dynamic_stack: false
    .vgpr_count:     93
    .vgpr_spill_count: 0
    .wavefront_size: 64
  - .args:
      - .actual_access:  read_only
        .address_space:  global
        .offset:         0
        .size:           8
        .value_kind:     global_buffer
      - .actual_access:  write_only
        .address_space:  global
        .offset:         8
        .size:           8
        .value_kind:     global_buffer
      - .offset:         16
        .size:           4
        .value_kind:     by_value
      - .offset:         20
        .size:           4
        .value_kind:     by_value
      - .offset:         24
        .size:           4
        .value_kind:     by_value
      - .offset:         32
        .size:           4
        .value_kind:     hidden_block_count_x
      - .offset:         36
        .size:           4
        .value_kind:     hidden_block_count_y
      - .offset:         40
        .size:           4
        .value_kind:     hidden_block_count_z
      - .offset:         44
        .size:           2
        .value_kind:     hidden_group_size_x
      - .offset:         46
        .size:           2
        .value_kind:     hidden_group_size_y
      - .offset:         48
        .size:           2
        .value_kind:     hidden_group_size_z
      - .offset:         50
        .size:           2
        .value_kind:     hidden_remainder_x
      - .offset:         52
        .size:           2
        .value_kind:     hidden_remainder_y
      - .offset:         54
        .size:           2
        .value_kind:     hidden_remainder_z
      - .offset:         72
        .size:           8
        .value_kind:     hidden_global_offset_x
      - .offset:         80
        .size:           8
        .value_kind:     hidden_global_offset_y
      - .offset:         88
        .size:           8
        .value_kind:     hidden_global_offset_z
      - .offset:         96
        .size:           2
        .value_kind:     hidden_grid_dims
    .group_segment_fixed_size: 128
    .kernarg_segment_align: 8
    .kernarg_segment_size: 288
    .language:       OpenCL C
    .language_version:
      - 2
      - 0
    .max_flat_workgroup_size: 128
    .name:           _ZL25flash_attn_mask_to_KV_maxILi2EEvPK7__half2Piiii
    .private_segment_fixed_size: 0
    .sgpr_count:     26
    .sgpr_spill_count: 0
    .symbol:         _ZL25flash_attn_mask_to_KV_maxILi2EEvPK7__half2Piiii.kd
    .uniform_work_group_size: 1
    .uses_dynamic_stack: false
    .vgpr_count:     17
    .vgpr_spill_count: 0
    .wavefront_size: 64
  - .args:
      - .address_space:  global
        .offset:         0
        .size:           8
        .value_kind:     global_buffer
      - .address_space:  global
        .offset:         8
        .size:           8
        .value_kind:     global_buffer
      - .offset:         16
        .size:           4
        .value_kind:     by_value
      - .offset:         20
        .size:           4
        .value_kind:     by_value
      - .offset:         24
        .size:           4
        .value_kind:     by_value
      - .offset:         28
        .size:           4
        .value_kind:     by_value
      - .offset:         32
        .size:           4
        .value_kind:     by_value
      - .offset:         36
        .size:           4
        .value_kind:     by_value
      - .offset:         40
        .size:           12
        .value_kind:     by_value
      - .offset:         52
        .size:           12
        .value_kind:     by_value
      - .offset:         64
        .size:           12
        .value_kind:     by_value
    .group_segment_fixed_size: 0
    .kernarg_segment_align: 8
    .kernarg_segment_size: 76
    .language:       OpenCL C
    .language_version:
      - 2
      - 0
    .max_flat_workgroup_size: 512
    .name:           _ZL33flash_attn_stream_k_fixup_uniformILi512ELi2ELi16EEvPfPK15HIP_vector_typeIfLj2EEiiiiiiS1_IjLj3EES5_S5_
    .private_segment_fixed_size: 0
    .sgpr_count:     24
    .sgpr_spill_count: 0
    .symbol:         _ZL33flash_attn_stream_k_fixup_uniformILi512ELi2ELi16EEvPfPK15HIP_vector_typeIfLj2EEiiiiiiS1_IjLj3EES5_S5_.kd
    .uniform_work_group_size: 1
    .uses_dynamic_stack: false
    .vgpr_count:     17
    .vgpr_spill_count: 0
    .wavefront_size: 64
  - .args:
      - .address_space:  global
        .offset:         0
        .size:           8
        .value_kind:     global_buffer
      - .address_space:  global
        .offset:         8
        .size:           8
        .value_kind:     global_buffer
      - .offset:         16
        .size:           4
        .value_kind:     by_value
      - .offset:         20
        .size:           4
        .value_kind:     by_value
      - .offset:         24
        .size:           4
        .value_kind:     by_value
      - .offset:         28
        .size:           4
        .value_kind:     by_value
      - .offset:         32
        .size:           12
        .value_kind:     by_value
      - .offset:         44
        .size:           12
        .value_kind:     by_value
      - .offset:         56
        .size:           12
        .value_kind:     by_value
      - .offset:         68
        .size:           12
        .value_kind:     by_value
      - .offset:         80
        .size:           4
        .value_kind:     hidden_block_count_x
      - .offset:         84
        .size:           4
        .value_kind:     hidden_block_count_y
      - .offset:         88
        .size:           4
        .value_kind:     hidden_block_count_z
      - .offset:         92
        .size:           2
        .value_kind:     hidden_group_size_x
      - .offset:         94
        .size:           2
        .value_kind:     hidden_group_size_y
      - .offset:         96
        .size:           2
        .value_kind:     hidden_group_size_z
      - .offset:         98
        .size:           2
        .value_kind:     hidden_remainder_x
      - .offset:         100
        .size:           2
        .value_kind:     hidden_remainder_y
      - .offset:         102
        .size:           2
        .value_kind:     hidden_remainder_z
      - .offset:         120
        .size:           8
        .value_kind:     hidden_global_offset_x
      - .offset:         128
        .size:           8
        .value_kind:     hidden_global_offset_y
      - .offset:         136
        .size:           8
        .value_kind:     hidden_global_offset_z
      - .offset:         144
        .size:           2
        .value_kind:     hidden_grid_dims
    .group_segment_fixed_size: 0
    .kernarg_segment_align: 8
    .kernarg_segment_size: 336
    .language:       OpenCL C
    .language_version:
      - 2
      - 0
    .max_flat_workgroup_size: 512
    .name:           _ZL33flash_attn_stream_k_fixup_generalILi512ELi2ELi16EEvPfPK15HIP_vector_typeIfLj2EEiiiiS1_IjLj3EES5_S5_S5_
    .private_segment_fixed_size: 0
    .sgpr_count:     40
    .sgpr_spill_count: 0
    .symbol:         _ZL33flash_attn_stream_k_fixup_generalILi512ELi2ELi16EEvPfPK15HIP_vector_typeIfLj2EEiiiiS1_IjLj3EES5_S5_S5_.kd
    .uniform_work_group_size: 1
    .uses_dynamic_stack: false
    .vgpr_count:     18
    .vgpr_spill_count: 0
    .wavefront_size: 64
  - .args:
      - .address_space:  global
        .offset:         0
        .size:           8
        .value_kind:     global_buffer
      - .address_space:  global
        .offset:         8
        .size:           8
        .value_kind:     global_buffer
      - .address_space:  global
        .offset:         16
        .size:           8
        .value_kind:     global_buffer
      - .offset:         24
        .size:           4
        .value_kind:     by_value
      - .offset:         32
        .size:           4
        .value_kind:     hidden_block_count_x
      - .offset:         36
        .size:           4
        .value_kind:     hidden_block_count_y
      - .offset:         40
        .size:           4
        .value_kind:     hidden_block_count_z
      - .offset:         44
        .size:           2
        .value_kind:     hidden_group_size_x
      - .offset:         46
        .size:           2
        .value_kind:     hidden_group_size_y
      - .offset:         48
        .size:           2
        .value_kind:     hidden_group_size_z
      - .offset:         50
        .size:           2
        .value_kind:     hidden_remainder_x
      - .offset:         52
        .size:           2
        .value_kind:     hidden_remainder_y
      - .offset:         54
        .size:           2
        .value_kind:     hidden_remainder_z
      - .offset:         72
        .size:           8
        .value_kind:     hidden_global_offset_x
      - .offset:         80
        .size:           8
        .value_kind:     hidden_global_offset_y
      - .offset:         88
        .size:           8
        .value_kind:     hidden_global_offset_z
      - .offset:         96
        .size:           2
        .value_kind:     hidden_grid_dims
      - .offset:         152
        .size:           4
        .value_kind:     hidden_dynamic_lds_size
    .group_segment_fixed_size: 0
    .kernarg_segment_align: 8
    .kernarg_segment_size: 288
    .language:       OpenCL C
    .language_version:
      - 2
      - 0
    .max_flat_workgroup_size: 512
    .name:           _ZL26flash_attn_combine_resultsILi512EEvPKfPK15HIP_vector_typeIfLj2EEPfi
    .private_segment_fixed_size: 0
    .sgpr_count:     20
    .sgpr_spill_count: 0
    .symbol:         _ZL26flash_attn_combine_resultsILi512EEvPKfPK15HIP_vector_typeIfLj2EEPfi.kd
    .uniform_work_group_size: 1
    .uses_dynamic_stack: false
    .vgpr_count:     17
    .vgpr_spill_count: 0
    .wavefront_size: 64
  - .args:
      - .address_space:  global
        .offset:         0
        .size:           8
        .value_kind:     global_buffer
      - .address_space:  global
        .offset:         8
        .size:           8
        .value_kind:     global_buffer
      - .address_space:  global
        .offset:         16
        .size:           8
        .value_kind:     global_buffer
      - .address_space:  global
        .offset:         24
        .size:           8
        .value_kind:     global_buffer
      - .address_space:  global
        .offset:         32
        .size:           8
        .value_kind:     global_buffer
      - .address_space:  global
        .offset:         40
        .size:           8
        .value_kind:     global_buffer
      - .address_space:  global
        .offset:         48
        .size:           8
        .value_kind:     global_buffer
      - .address_space:  global
        .offset:         56
        .size:           8
        .value_kind:     global_buffer
      - .offset:         64
        .size:           4
        .value_kind:     by_value
      - .offset:         68
        .size:           4
        .value_kind:     by_value
      - .offset:         72
        .size:           4
        .value_kind:     by_value
      - .offset:         76
        .size:           4
        .value_kind:     by_value
      - .offset:         80
        .size:           4
        .value_kind:     by_value
      - .offset:         84
        .size:           4
        .value_kind:     by_value
      - .offset:         88
        .size:           4
        .value_kind:     by_value
      - .offset:         92
        .size:           12
        .value_kind:     by_value
      - .offset:         104
        .size:           4
        .value_kind:     by_value
      - .offset:         108
        .size:           4
        .value_kind:     by_value
      - .offset:         112
        .size:           4
        .value_kind:     by_value
      - .offset:         116
        .size:           4
        .value_kind:     by_value
      - .offset:         120
        .size:           4
        .value_kind:     by_value
      - .offset:         124
        .size:           4
        .value_kind:     by_value
      - .offset:         128
        .size:           4
        .value_kind:     by_value
      - .offset:         132
        .size:           4
        .value_kind:     by_value
      - .offset:         136
        .size:           4
        .value_kind:     by_value
      - .offset:         140
        .size:           4
        .value_kind:     by_value
      - .offset:         144
        .size:           4
        .value_kind:     by_value
      - .offset:         152
        .size:           8
        .value_kind:     by_value
      - .offset:         160
        .size:           4
        .value_kind:     by_value
      - .offset:         164
        .size:           4
        .value_kind:     by_value
      - .offset:         168
        .size:           8
        .value_kind:     by_value
      - .offset:         176
        .size:           4
        .value_kind:     by_value
      - .offset:         180
        .size:           4
        .value_kind:     by_value
      - .offset:         184
        .size:           4
        .value_kind:     by_value
      - .offset:         188
        .size:           4
        .value_kind:     by_value
      - .offset:         192
        .size:           4
        .value_kind:     by_value
      - .offset:         200
        .size:           8
        .value_kind:     by_value
      - .offset:         208
        .size:           4
        .value_kind:     hidden_block_count_x
      - .offset:         212
        .size:           4
        .value_kind:     hidden_block_count_y
      - .offset:         216
        .size:           4
        .value_kind:     hidden_block_count_z
      - .offset:         220
        .size:           2
        .value_kind:     hidden_group_size_x
      - .offset:         222
        .size:           2
        .value_kind:     hidden_group_size_y
      - .offset:         224
        .size:           2
        .value_kind:     hidden_group_size_z
      - .offset:         226
        .size:           2
        .value_kind:     hidden_remainder_x
      - .offset:         228
        .size:           2
        .value_kind:     hidden_remainder_y
      - .offset:         230
        .size:           2
        .value_kind:     hidden_remainder_z
      - .offset:         248
        .size:           8
        .value_kind:     hidden_global_offset_x
      - .offset:         256
        .size:           8
        .value_kind:     hidden_global_offset_y
      - .offset:         264
        .size:           8
        .value_kind:     hidden_global_offset_z
      - .offset:         272
        .size:           2
        .value_kind:     hidden_grid_dims
    .group_segment_fixed_size: 29696
    .kernarg_segment_align: 8
    .kernarg_segment_size: 464
    .language:       OpenCL C
    .language_version:
      - 2
      - 0
    .max_flat_workgroup_size: 256
    .name:           _ZL15flash_attn_tileILi576ELi512ELi1ELi16ELb0EEvPKcS1_S1_S1_S1_PKiPfP15HIP_vector_typeIfLj2EEffffjfiS5_IjLj3EEiiiiiiiiiiiliiliiiiil
    .private_segment_fixed_size: 0
    .sgpr_count:     44
    .sgpr_spill_count: 0
    .symbol:         _ZL15flash_attn_tileILi576ELi512ELi1ELi16ELb0EEvPKcS1_S1_S1_S1_PKiPfP15HIP_vector_typeIfLj2EEffffjfiS5_IjLj3EEiiiiiiiiiiiliiliiiiil.kd
    .uniform_work_group_size: 1
    .uses_dynamic_stack: false
    .vgpr_count:     77
    .vgpr_spill_count: 0
    .wavefront_size: 64
  - .args:
      - .actual_access:  read_only
        .address_space:  global
        .offset:         0
        .size:           8
        .value_kind:     global_buffer
      - .actual_access:  write_only
        .address_space:  global
        .offset:         8
        .size:           8
        .value_kind:     global_buffer
      - .offset:         16
        .size:           4
        .value_kind:     by_value
      - .offset:         20
        .size:           4
        .value_kind:     by_value
      - .offset:         24
        .size:           4
        .value_kind:     by_value
      - .offset:         32
        .size:           4
        .value_kind:     hidden_block_count_x
      - .offset:         36
        .size:           4
        .value_kind:     hidden_block_count_y
      - .offset:         40
        .size:           4
        .value_kind:     hidden_block_count_z
      - .offset:         44
        .size:           2
        .value_kind:     hidden_group_size_x
      - .offset:         46
        .size:           2
        .value_kind:     hidden_group_size_y
      - .offset:         48
        .size:           2
        .value_kind:     hidden_group_size_z
      - .offset:         50
        .size:           2
        .value_kind:     hidden_remainder_x
      - .offset:         52
        .size:           2
        .value_kind:     hidden_remainder_y
      - .offset:         54
        .size:           2
        .value_kind:     hidden_remainder_z
      - .offset:         72
        .size:           8
        .value_kind:     hidden_global_offset_x
      - .offset:         80
        .size:           8
        .value_kind:     hidden_global_offset_y
      - .offset:         88
        .size:           8
        .value_kind:     hidden_global_offset_z
      - .offset:         96
        .size:           2
        .value_kind:     hidden_grid_dims
    .group_segment_fixed_size: 128
    .kernarg_segment_align: 8
    .kernarg_segment_size: 288
    .language:       OpenCL C
    .language_version:
      - 2
      - 0
    .max_flat_workgroup_size: 128
    .name:           _ZL25flash_attn_mask_to_KV_maxILi1EEvPK7__half2Piiii
    .private_segment_fixed_size: 0
    .sgpr_count:     22
    .sgpr_spill_count: 0
    .symbol:         _ZL25flash_attn_mask_to_KV_maxILi1EEvPK7__half2Piiii.kd
    .uniform_work_group_size: 1
    .uses_dynamic_stack: false
    .vgpr_count:     17
    .vgpr_spill_count: 0
    .wavefront_size: 64
  - .args:
      - .address_space:  global
        .offset:         0
        .size:           8
        .value_kind:     global_buffer
      - .address_space:  global
        .offset:         8
        .size:           8
        .value_kind:     global_buffer
      - .offset:         16
        .size:           4
        .value_kind:     by_value
      - .offset:         20
        .size:           4
        .value_kind:     by_value
      - .offset:         24
        .size:           4
        .value_kind:     by_value
      - .offset:         28
        .size:           4
        .value_kind:     by_value
      - .offset:         32
        .size:           4
        .value_kind:     by_value
      - .offset:         36
        .size:           4
        .value_kind:     by_value
      - .offset:         40
        .size:           12
        .value_kind:     by_value
      - .offset:         52
        .size:           12
        .value_kind:     by_value
      - .offset:         64
        .size:           12
        .value_kind:     by_value
    .group_segment_fixed_size: 0
    .kernarg_segment_align: 8
    .kernarg_segment_size: 76
    .language:       OpenCL C
    .language_version:
      - 2
      - 0
    .max_flat_workgroup_size: 512
    .name:           _ZL33flash_attn_stream_k_fixup_uniformILi512ELi1ELi16EEvPfPK15HIP_vector_typeIfLj2EEiiiiiiS1_IjLj3EES5_S5_
    .private_segment_fixed_size: 0
    .sgpr_count:     24
    .sgpr_spill_count: 0
    .symbol:         _ZL33flash_attn_stream_k_fixup_uniformILi512ELi1ELi16EEvPfPK15HIP_vector_typeIfLj2EEiiiiiiS1_IjLj3EES5_S5_.kd
    .uniform_work_group_size: 1
    .uses_dynamic_stack: false
    .vgpr_count:     17
    .vgpr_spill_count: 0
    .wavefront_size: 64
  - .args:
      - .address_space:  global
        .offset:         0
        .size:           8
        .value_kind:     global_buffer
      - .address_space:  global
        .offset:         8
        .size:           8
        .value_kind:     global_buffer
      - .offset:         16
        .size:           4
        .value_kind:     by_value
      - .offset:         20
        .size:           4
        .value_kind:     by_value
      - .offset:         24
        .size:           4
        .value_kind:     by_value
      - .offset:         28
        .size:           4
        .value_kind:     by_value
      - .offset:         32
        .size:           12
        .value_kind:     by_value
      - .offset:         44
        .size:           12
        .value_kind:     by_value
      - .offset:         56
        .size:           12
        .value_kind:     by_value
      - .offset:         68
        .size:           12
        .value_kind:     by_value
      - .offset:         80
        .size:           4
        .value_kind:     hidden_block_count_x
      - .offset:         84
        .size:           4
        .value_kind:     hidden_block_count_y
      - .offset:         88
        .size:           4
        .value_kind:     hidden_block_count_z
      - .offset:         92
        .size:           2
        .value_kind:     hidden_group_size_x
      - .offset:         94
        .size:           2
        .value_kind:     hidden_group_size_y
      - .offset:         96
        .size:           2
        .value_kind:     hidden_group_size_z
      - .offset:         98
        .size:           2
        .value_kind:     hidden_remainder_x
      - .offset:         100
        .size:           2
        .value_kind:     hidden_remainder_y
      - .offset:         102
        .size:           2
        .value_kind:     hidden_remainder_z
      - .offset:         120
        .size:           8
        .value_kind:     hidden_global_offset_x
      - .offset:         128
        .size:           8
        .value_kind:     hidden_global_offset_y
      - .offset:         136
        .size:           8
        .value_kind:     hidden_global_offset_z
      - .offset:         144
        .size:           2
        .value_kind:     hidden_grid_dims
    .group_segment_fixed_size: 0
    .kernarg_segment_align: 8
    .kernarg_segment_size: 336
    .language:       OpenCL C
    .language_version:
      - 2
      - 0
    .max_flat_workgroup_size: 512
    .name:           _ZL33flash_attn_stream_k_fixup_generalILi512ELi1ELi16EEvPfPK15HIP_vector_typeIfLj2EEiiiiS1_IjLj3EES5_S5_S5_
    .private_segment_fixed_size: 0
    .sgpr_count:     41
    .sgpr_spill_count: 0
    .symbol:         _ZL33flash_attn_stream_k_fixup_generalILi512ELi1ELi16EEvPfPK15HIP_vector_typeIfLj2EEiiiiS1_IjLj3EES5_S5_S5_.kd
    .uniform_work_group_size: 1
    .uses_dynamic_stack: false
    .vgpr_count:     18
    .vgpr_spill_count: 0
    .wavefront_size: 64
  - .args:
      - .address_space:  global
        .offset:         0
        .size:           8
        .value_kind:     global_buffer
      - .address_space:  global
        .offset:         8
        .size:           8
        .value_kind:     global_buffer
      - .address_space:  global
        .offset:         16
        .size:           8
        .value_kind:     global_buffer
      - .address_space:  global
        .offset:         24
        .size:           8
        .value_kind:     global_buffer
      - .address_space:  global
        .offset:         32
        .size:           8
        .value_kind:     global_buffer
      - .address_space:  global
        .offset:         40
        .size:           8
        .value_kind:     global_buffer
      - .address_space:  global
        .offset:         48
        .size:           8
        .value_kind:     global_buffer
      - .address_space:  global
        .offset:         56
        .size:           8
        .value_kind:     global_buffer
      - .offset:         64
        .size:           4
        .value_kind:     by_value
      - .offset:         68
        .size:           4
        .value_kind:     by_value
      - .offset:         72
        .size:           4
        .value_kind:     by_value
      - .offset:         76
        .size:           4
        .value_kind:     by_value
      - .offset:         80
        .size:           4
        .value_kind:     by_value
      - .offset:         84
        .size:           4
        .value_kind:     by_value
      - .offset:         88
        .size:           4
        .value_kind:     by_value
      - .offset:         92
        .size:           12
        .value_kind:     by_value
      - .offset:         104
        .size:           4
        .value_kind:     by_value
      - .offset:         108
        .size:           4
        .value_kind:     by_value
      - .offset:         112
        .size:           4
        .value_kind:     by_value
      - .offset:         116
        .size:           4
        .value_kind:     by_value
      - .offset:         120
        .size:           4
        .value_kind:     by_value
      - .offset:         124
        .size:           4
        .value_kind:     by_value
      - .offset:         128
        .size:           4
        .value_kind:     by_value
      - .offset:         132
        .size:           4
        .value_kind:     by_value
      - .offset:         136
        .size:           4
        .value_kind:     by_value
      - .offset:         140
        .size:           4
        .value_kind:     by_value
      - .offset:         144
        .size:           4
        .value_kind:     by_value
      - .offset:         152
        .size:           8
        .value_kind:     by_value
      - .offset:         160
        .size:           4
        .value_kind:     by_value
      - .offset:         164
        .size:           4
        .value_kind:     by_value
      - .offset:         168
        .size:           8
        .value_kind:     by_value
      - .offset:         176
        .size:           4
        .value_kind:     by_value
      - .offset:         180
        .size:           4
        .value_kind:     by_value
      - .offset:         184
        .size:           4
        .value_kind:     by_value
      - .offset:         188
        .size:           4
        .value_kind:     by_value
      - .offset:         192
        .size:           4
        .value_kind:     by_value
      - .offset:         200
        .size:           8
        .value_kind:     by_value
      - .offset:         208
        .size:           4
        .value_kind:     hidden_block_count_x
      - .offset:         212
        .size:           4
        .value_kind:     hidden_block_count_y
      - .offset:         216
        .size:           4
        .value_kind:     hidden_block_count_z
      - .offset:         220
        .size:           2
        .value_kind:     hidden_group_size_x
      - .offset:         222
        .size:           2
        .value_kind:     hidden_group_size_y
      - .offset:         224
        .size:           2
        .value_kind:     hidden_group_size_z
      - .offset:         226
        .size:           2
        .value_kind:     hidden_remainder_x
      - .offset:         228
        .size:           2
        .value_kind:     hidden_remainder_y
      - .offset:         230
        .size:           2
        .value_kind:     hidden_remainder_z
      - .offset:         248
        .size:           8
        .value_kind:     hidden_global_offset_x
      - .offset:         256
        .size:           8
        .value_kind:     hidden_global_offset_y
      - .offset:         264
        .size:           8
        .value_kind:     hidden_global_offset_z
      - .offset:         272
        .size:           2
        .value_kind:     hidden_grid_dims
    .group_segment_fixed_size: 63488
    .kernarg_segment_align: 8
    .kernarg_segment_size: 464
    .language:       OpenCL C
    .language_version:
      - 2
      - 0
    .max_flat_workgroup_size: 512
    .name:           _ZL15flash_attn_tileILi576ELi512ELi8ELi4ELb0EEvPKcS1_S1_S1_S1_PKiPfP15HIP_vector_typeIfLj2EEffffjfiS5_IjLj3EEiiiiiiiiiiiliiliiiiil
    .private_segment_fixed_size: 0
    .sgpr_count:     44
    .sgpr_spill_count: 0
    .symbol:         _ZL15flash_attn_tileILi576ELi512ELi8ELi4ELb0EEvPKcS1_S1_S1_S1_PKiPfP15HIP_vector_typeIfLj2EEffffjfiS5_IjLj3EEiiiiiiiiiiiliiliiiiil.kd
    .uniform_work_group_size: 1
    .uses_dynamic_stack: false
    .vgpr_count:     93
    .vgpr_spill_count: 0
    .wavefront_size: 64
  - .args:
      - .actual_access:  read_only
        .address_space:  global
        .offset:         0
        .size:           8
        .value_kind:     global_buffer
      - .actual_access:  write_only
        .address_space:  global
        .offset:         8
        .size:           8
        .value_kind:     global_buffer
      - .offset:         16
        .size:           4
        .value_kind:     by_value
      - .offset:         20
        .size:           4
        .value_kind:     by_value
      - .offset:         24
        .size:           4
        .value_kind:     by_value
      - .offset:         32
        .size:           4
        .value_kind:     hidden_block_count_x
      - .offset:         36
        .size:           4
        .value_kind:     hidden_block_count_y
      - .offset:         40
        .size:           4
        .value_kind:     hidden_block_count_z
      - .offset:         44
        .size:           2
        .value_kind:     hidden_group_size_x
      - .offset:         46
        .size:           2
        .value_kind:     hidden_group_size_y
      - .offset:         48
        .size:           2
        .value_kind:     hidden_group_size_z
      - .offset:         50
        .size:           2
        .value_kind:     hidden_remainder_x
      - .offset:         52
        .size:           2
        .value_kind:     hidden_remainder_y
      - .offset:         54
        .size:           2
        .value_kind:     hidden_remainder_z
      - .offset:         72
        .size:           8
        .value_kind:     hidden_global_offset_x
      - .offset:         80
        .size:           8
        .value_kind:     hidden_global_offset_y
      - .offset:         88
        .size:           8
        .value_kind:     hidden_global_offset_z
      - .offset:         96
        .size:           2
        .value_kind:     hidden_grid_dims
    .group_segment_fixed_size: 128
    .kernarg_segment_align: 8
    .kernarg_segment_size: 288
    .language:       OpenCL C
    .language_version:
      - 2
      - 0
    .max_flat_workgroup_size: 128
    .name:           _ZL25flash_attn_mask_to_KV_maxILi8EEvPK7__half2Piiii
    .private_segment_fixed_size: 0
    .sgpr_count:     50
    .sgpr_spill_count: 0
    .symbol:         _ZL25flash_attn_mask_to_KV_maxILi8EEvPK7__half2Piiii.kd
    .uniform_work_group_size: 1
    .uses_dynamic_stack: false
    .vgpr_count:     12
    .vgpr_spill_count: 0
    .wavefront_size: 64
  - .args:
      - .address_space:  global
        .offset:         0
        .size:           8
        .value_kind:     global_buffer
      - .address_space:  global
        .offset:         8
        .size:           8
        .value_kind:     global_buffer
      - .offset:         16
        .size:           4
        .value_kind:     by_value
      - .offset:         20
        .size:           4
        .value_kind:     by_value
      - .offset:         24
        .size:           4
        .value_kind:     by_value
      - .offset:         28
        .size:           4
        .value_kind:     by_value
      - .offset:         32
        .size:           4
        .value_kind:     by_value
      - .offset:         36
        .size:           4
        .value_kind:     by_value
      - .offset:         40
        .size:           12
        .value_kind:     by_value
      - .offset:         52
        .size:           12
        .value_kind:     by_value
      - .offset:         64
        .size:           12
        .value_kind:     by_value
    .group_segment_fixed_size: 0
    .kernarg_segment_align: 8
    .kernarg_segment_size: 76
    .language:       OpenCL C
    .language_version:
      - 2
      - 0
    .max_flat_workgroup_size: 512
    .name:           _ZL33flash_attn_stream_k_fixup_uniformILi512ELi8ELi4EEvPfPK15HIP_vector_typeIfLj2EEiiiiiiS1_IjLj3EES5_S5_
    .private_segment_fixed_size: 0
    .sgpr_count:     24
    .sgpr_spill_count: 0
    .symbol:         _ZL33flash_attn_stream_k_fixup_uniformILi512ELi8ELi4EEvPfPK15HIP_vector_typeIfLj2EEiiiiiiS1_IjLj3EES5_S5_.kd
    .uniform_work_group_size: 1
    .uses_dynamic_stack: false
    .vgpr_count:     17
    .vgpr_spill_count: 0
    .wavefront_size: 64
  - .args:
      - .address_space:  global
        .offset:         0
        .size:           8
        .value_kind:     global_buffer
      - .address_space:  global
        .offset:         8
        .size:           8
        .value_kind:     global_buffer
      - .offset:         16
        .size:           4
        .value_kind:     by_value
      - .offset:         20
        .size:           4
        .value_kind:     by_value
      - .offset:         24
        .size:           4
        .value_kind:     by_value
      - .offset:         28
        .size:           4
        .value_kind:     by_value
      - .offset:         32
        .size:           12
        .value_kind:     by_value
      - .offset:         44
        .size:           12
        .value_kind:     by_value
      - .offset:         56
        .size:           12
        .value_kind:     by_value
      - .offset:         68
        .size:           12
        .value_kind:     by_value
      - .offset:         80
        .size:           4
        .value_kind:     hidden_block_count_x
      - .offset:         84
        .size:           4
        .value_kind:     hidden_block_count_y
      - .offset:         88
        .size:           4
        .value_kind:     hidden_block_count_z
      - .offset:         92
        .size:           2
        .value_kind:     hidden_group_size_x
      - .offset:         94
        .size:           2
        .value_kind:     hidden_group_size_y
      - .offset:         96
        .size:           2
        .value_kind:     hidden_group_size_z
      - .offset:         98
        .size:           2
        .value_kind:     hidden_remainder_x
      - .offset:         100
        .size:           2
        .value_kind:     hidden_remainder_y
      - .offset:         102
        .size:           2
        .value_kind:     hidden_remainder_z
      - .offset:         120
        .size:           8
        .value_kind:     hidden_global_offset_x
      - .offset:         128
        .size:           8
        .value_kind:     hidden_global_offset_y
      - .offset:         136
        .size:           8
        .value_kind:     hidden_global_offset_z
      - .offset:         144
        .size:           2
        .value_kind:     hidden_grid_dims
    .group_segment_fixed_size: 0
    .kernarg_segment_align: 8
    .kernarg_segment_size: 336
    .language:       OpenCL C
    .language_version:
      - 2
      - 0
    .max_flat_workgroup_size: 512
    .name:           _ZL33flash_attn_stream_k_fixup_generalILi512ELi8ELi4EEvPfPK15HIP_vector_typeIfLj2EEiiiiS1_IjLj3EES5_S5_S5_
    .private_segment_fixed_size: 0
    .sgpr_count:     40
    .sgpr_spill_count: 0
    .symbol:         _ZL33flash_attn_stream_k_fixup_generalILi512ELi8ELi4EEvPfPK15HIP_vector_typeIfLj2EEiiiiS1_IjLj3EES5_S5_S5_.kd
    .uniform_work_group_size: 1
    .uses_dynamic_stack: false
    .vgpr_count:     18
    .vgpr_spill_count: 0
    .wavefront_size: 64
  - .args:
      - .address_space:  global
        .offset:         0
        .size:           8
        .value_kind:     global_buffer
      - .address_space:  global
        .offset:         8
        .size:           8
        .value_kind:     global_buffer
      - .address_space:  global
        .offset:         16
        .size:           8
        .value_kind:     global_buffer
      - .address_space:  global
        .offset:         24
        .size:           8
        .value_kind:     global_buffer
      - .address_space:  global
        .offset:         32
        .size:           8
        .value_kind:     global_buffer
      - .address_space:  global
        .offset:         40
        .size:           8
        .value_kind:     global_buffer
      - .address_space:  global
        .offset:         48
        .size:           8
        .value_kind:     global_buffer
      - .address_space:  global
        .offset:         56
        .size:           8
        .value_kind:     global_buffer
      - .offset:         64
        .size:           4
        .value_kind:     by_value
      - .offset:         68
        .size:           4
        .value_kind:     by_value
      - .offset:         72
        .size:           4
        .value_kind:     by_value
      - .offset:         76
        .size:           4
        .value_kind:     by_value
      - .offset:         80
        .size:           4
        .value_kind:     by_value
      - .offset:         84
        .size:           4
        .value_kind:     by_value
      - .offset:         88
        .size:           4
        .value_kind:     by_value
      - .offset:         92
        .size:           12
        .value_kind:     by_value
      - .offset:         104
        .size:           4
        .value_kind:     by_value
      - .offset:         108
        .size:           4
        .value_kind:     by_value
      - .offset:         112
        .size:           4
        .value_kind:     by_value
      - .offset:         116
        .size:           4
        .value_kind:     by_value
      - .offset:         120
        .size:           4
        .value_kind:     by_value
      - .offset:         124
        .size:           4
        .value_kind:     by_value
      - .offset:         128
        .size:           4
        .value_kind:     by_value
      - .offset:         132
        .size:           4
        .value_kind:     by_value
      - .offset:         136
        .size:           4
        .value_kind:     by_value
      - .offset:         140
        .size:           4
        .value_kind:     by_value
      - .offset:         144
        .size:           4
        .value_kind:     by_value
      - .offset:         152
        .size:           8
        .value_kind:     by_value
      - .offset:         160
        .size:           4
        .value_kind:     by_value
      - .offset:         164
        .size:           4
        .value_kind:     by_value
      - .offset:         168
        .size:           8
        .value_kind:     by_value
      - .offset:         176
        .size:           4
        .value_kind:     by_value
      - .offset:         180
        .size:           4
        .value_kind:     by_value
      - .offset:         184
        .size:           4
        .value_kind:     by_value
      - .offset:         188
        .size:           4
        .value_kind:     by_value
      - .offset:         192
        .size:           4
        .value_kind:     by_value
      - .offset:         200
        .size:           8
        .value_kind:     by_value
      - .offset:         208
        .size:           4
        .value_kind:     hidden_block_count_x
      - .offset:         212
        .size:           4
        .value_kind:     hidden_block_count_y
      - .offset:         216
        .size:           4
        .value_kind:     hidden_block_count_z
      - .offset:         220
        .size:           2
        .value_kind:     hidden_group_size_x
      - .offset:         222
        .size:           2
        .value_kind:     hidden_group_size_y
      - .offset:         224
        .size:           2
        .value_kind:     hidden_group_size_z
      - .offset:         226
        .size:           2
        .value_kind:     hidden_remainder_x
      - .offset:         228
        .size:           2
        .value_kind:     hidden_remainder_y
      - .offset:         230
        .size:           2
        .value_kind:     hidden_remainder_z
      - .offset:         248
        .size:           8
        .value_kind:     hidden_global_offset_x
      - .offset:         256
        .size:           8
        .value_kind:     hidden_global_offset_y
      - .offset:         264
        .size:           8
        .value_kind:     hidden_global_offset_z
      - .offset:         272
        .size:           2
        .value_kind:     hidden_grid_dims
    .group_segment_fixed_size: 29696
    .kernarg_segment_align: 8
    .kernarg_segment_size: 464
    .language:       OpenCL C
    .language_version:
      - 2
      - 0
    .max_flat_workgroup_size: 256
    .name:           _ZL15flash_attn_tileILi576ELi512ELi4ELi4ELb0EEvPKcS1_S1_S1_S1_PKiPfP15HIP_vector_typeIfLj2EEffffjfiS5_IjLj3EEiiiiiiiiiiiliiliiiiil
    .private_segment_fixed_size: 0
    .sgpr_count:     44
    .sgpr_spill_count: 0
    .symbol:         _ZL15flash_attn_tileILi576ELi512ELi4ELi4ELb0EEvPKcS1_S1_S1_S1_PKiPfP15HIP_vector_typeIfLj2EEffffjfiS5_IjLj3EEiiiiiiiiiiiliiliiiiil.kd
    .uniform_work_group_size: 1
    .uses_dynamic_stack: false
    .vgpr_count:     77
    .vgpr_spill_count: 0
    .wavefront_size: 64
  - .args:
      - .actual_access:  read_only
        .address_space:  global
        .offset:         0
        .size:           8
        .value_kind:     global_buffer
      - .actual_access:  write_only
        .address_space:  global
        .offset:         8
        .size:           8
        .value_kind:     global_buffer
      - .offset:         16
        .size:           4
        .value_kind:     by_value
      - .offset:         20
        .size:           4
        .value_kind:     by_value
      - .offset:         24
        .size:           4
        .value_kind:     by_value
      - .offset:         32
        .size:           4
        .value_kind:     hidden_block_count_x
      - .offset:         36
        .size:           4
        .value_kind:     hidden_block_count_y
      - .offset:         40
        .size:           4
        .value_kind:     hidden_block_count_z
      - .offset:         44
        .size:           2
        .value_kind:     hidden_group_size_x
      - .offset:         46
        .size:           2
        .value_kind:     hidden_group_size_y
      - .offset:         48
        .size:           2
        .value_kind:     hidden_group_size_z
      - .offset:         50
        .size:           2
        .value_kind:     hidden_remainder_x
      - .offset:         52
        .size:           2
        .value_kind:     hidden_remainder_y
      - .offset:         54
        .size:           2
        .value_kind:     hidden_remainder_z
      - .offset:         72
        .size:           8
        .value_kind:     hidden_global_offset_x
      - .offset:         80
        .size:           8
        .value_kind:     hidden_global_offset_y
      - .offset:         88
        .size:           8
        .value_kind:     hidden_global_offset_z
      - .offset:         96
        .size:           2
        .value_kind:     hidden_grid_dims
    .group_segment_fixed_size: 128
    .kernarg_segment_align: 8
    .kernarg_segment_size: 288
    .language:       OpenCL C
    .language_version:
      - 2
      - 0
    .max_flat_workgroup_size: 128
    .name:           _ZL25flash_attn_mask_to_KV_maxILi4EEvPK7__half2Piiii
    .private_segment_fixed_size: 0
    .sgpr_count:     34
    .sgpr_spill_count: 0
    .symbol:         _ZL25flash_attn_mask_to_KV_maxILi4EEvPK7__half2Piiii.kd
    .uniform_work_group_size: 1
    .uses_dynamic_stack: false
    .vgpr_count:     12
    .vgpr_spill_count: 0
    .wavefront_size: 64
  - .args:
      - .address_space:  global
        .offset:         0
        .size:           8
        .value_kind:     global_buffer
      - .address_space:  global
        .offset:         8
        .size:           8
        .value_kind:     global_buffer
      - .offset:         16
        .size:           4
        .value_kind:     by_value
      - .offset:         20
        .size:           4
        .value_kind:     by_value
      - .offset:         24
        .size:           4
        .value_kind:     by_value
      - .offset:         28
        .size:           4
        .value_kind:     by_value
      - .offset:         32
        .size:           4
        .value_kind:     by_value
      - .offset:         36
        .size:           4
        .value_kind:     by_value
      - .offset:         40
        .size:           12
        .value_kind:     by_value
      - .offset:         52
        .size:           12
        .value_kind:     by_value
      - .offset:         64
        .size:           12
        .value_kind:     by_value
    .group_segment_fixed_size: 0
    .kernarg_segment_align: 8
    .kernarg_segment_size: 76
    .language:       OpenCL C
    .language_version:
      - 2
      - 0
    .max_flat_workgroup_size: 512
    .name:           _ZL33flash_attn_stream_k_fixup_uniformILi512ELi4ELi4EEvPfPK15HIP_vector_typeIfLj2EEiiiiiiS1_IjLj3EES5_S5_
    .private_segment_fixed_size: 0
    .sgpr_count:     24
    .sgpr_spill_count: 0
    .symbol:         _ZL33flash_attn_stream_k_fixup_uniformILi512ELi4ELi4EEvPfPK15HIP_vector_typeIfLj2EEiiiiiiS1_IjLj3EES5_S5_.kd
    .uniform_work_group_size: 1
    .uses_dynamic_stack: false
    .vgpr_count:     17
    .vgpr_spill_count: 0
    .wavefront_size: 64
  - .args:
      - .address_space:  global
        .offset:         0
        .size:           8
        .value_kind:     global_buffer
      - .address_space:  global
        .offset:         8
        .size:           8
        .value_kind:     global_buffer
      - .offset:         16
        .size:           4
        .value_kind:     by_value
      - .offset:         20
        .size:           4
        .value_kind:     by_value
      - .offset:         24
        .size:           4
        .value_kind:     by_value
      - .offset:         28
        .size:           4
        .value_kind:     by_value
      - .offset:         32
        .size:           12
        .value_kind:     by_value
      - .offset:         44
        .size:           12
        .value_kind:     by_value
      - .offset:         56
        .size:           12
        .value_kind:     by_value
      - .offset:         68
        .size:           12
        .value_kind:     by_value
      - .offset:         80
        .size:           4
        .value_kind:     hidden_block_count_x
      - .offset:         84
        .size:           4
        .value_kind:     hidden_block_count_y
      - .offset:         88
        .size:           4
        .value_kind:     hidden_block_count_z
      - .offset:         92
        .size:           2
        .value_kind:     hidden_group_size_x
      - .offset:         94
        .size:           2
        .value_kind:     hidden_group_size_y
      - .offset:         96
        .size:           2
        .value_kind:     hidden_group_size_z
      - .offset:         98
        .size:           2
        .value_kind:     hidden_remainder_x
      - .offset:         100
        .size:           2
        .value_kind:     hidden_remainder_y
      - .offset:         102
        .size:           2
        .value_kind:     hidden_remainder_z
      - .offset:         120
        .size:           8
        .value_kind:     hidden_global_offset_x
      - .offset:         128
        .size:           8
        .value_kind:     hidden_global_offset_y
      - .offset:         136
        .size:           8
        .value_kind:     hidden_global_offset_z
      - .offset:         144
        .size:           2
        .value_kind:     hidden_grid_dims
    .group_segment_fixed_size: 0
    .kernarg_segment_align: 8
    .kernarg_segment_size: 336
    .language:       OpenCL C
    .language_version:
      - 2
      - 0
    .max_flat_workgroup_size: 512
    .name:           _ZL33flash_attn_stream_k_fixup_generalILi512ELi4ELi4EEvPfPK15HIP_vector_typeIfLj2EEiiiiS1_IjLj3EES5_S5_S5_
    .private_segment_fixed_size: 0
    .sgpr_count:     40
    .sgpr_spill_count: 0
    .symbol:         _ZL33flash_attn_stream_k_fixup_generalILi512ELi4ELi4EEvPfPK15HIP_vector_typeIfLj2EEiiiiS1_IjLj3EES5_S5_S5_.kd
    .uniform_work_group_size: 1
    .uses_dynamic_stack: false
    .vgpr_count:     18
    .vgpr_spill_count: 0
    .wavefront_size: 64
  - .args:
      - .address_space:  global
        .offset:         0
        .size:           8
        .value_kind:     global_buffer
      - .address_space:  global
        .offset:         8
        .size:           8
        .value_kind:     global_buffer
      - .address_space:  global
        .offset:         16
        .size:           8
        .value_kind:     global_buffer
      - .address_space:  global
        .offset:         24
        .size:           8
        .value_kind:     global_buffer
      - .address_space:  global
        .offset:         32
        .size:           8
        .value_kind:     global_buffer
      - .address_space:  global
        .offset:         40
        .size:           8
        .value_kind:     global_buffer
      - .address_space:  global
        .offset:         48
        .size:           8
        .value_kind:     global_buffer
      - .address_space:  global
        .offset:         56
        .size:           8
        .value_kind:     global_buffer
      - .offset:         64
        .size:           4
        .value_kind:     by_value
      - .offset:         68
        .size:           4
        .value_kind:     by_value
      - .offset:         72
        .size:           4
        .value_kind:     by_value
      - .offset:         76
        .size:           4
        .value_kind:     by_value
      - .offset:         80
        .size:           4
        .value_kind:     by_value
      - .offset:         84
        .size:           4
        .value_kind:     by_value
      - .offset:         88
        .size:           4
        .value_kind:     by_value
      - .offset:         92
        .size:           12
        .value_kind:     by_value
      - .offset:         104
        .size:           4
        .value_kind:     by_value
      - .offset:         108
        .size:           4
        .value_kind:     by_value
      - .offset:         112
        .size:           4
        .value_kind:     by_value
      - .offset:         116
        .size:           4
        .value_kind:     by_value
      - .offset:         120
        .size:           4
        .value_kind:     by_value
      - .offset:         124
        .size:           4
        .value_kind:     by_value
      - .offset:         128
        .size:           4
        .value_kind:     by_value
      - .offset:         132
        .size:           4
        .value_kind:     by_value
      - .offset:         136
        .size:           4
        .value_kind:     by_value
      - .offset:         140
        .size:           4
        .value_kind:     by_value
      - .offset:         144
        .size:           4
        .value_kind:     by_value
      - .offset:         152
        .size:           8
        .value_kind:     by_value
      - .offset:         160
        .size:           4
        .value_kind:     by_value
      - .offset:         164
        .size:           4
        .value_kind:     by_value
      - .offset:         168
        .size:           8
        .value_kind:     by_value
      - .offset:         176
        .size:           4
        .value_kind:     by_value
      - .offset:         180
        .size:           4
        .value_kind:     by_value
      - .offset:         184
        .size:           4
        .value_kind:     by_value
      - .offset:         188
        .size:           4
        .value_kind:     by_value
      - .offset:         192
        .size:           4
        .value_kind:     by_value
      - .offset:         200
        .size:           8
        .value_kind:     by_value
      - .offset:         208
        .size:           4
        .value_kind:     hidden_block_count_x
      - .offset:         212
        .size:           4
        .value_kind:     hidden_block_count_y
      - .offset:         216
        .size:           4
        .value_kind:     hidden_block_count_z
      - .offset:         220
        .size:           2
        .value_kind:     hidden_group_size_x
      - .offset:         222
        .size:           2
        .value_kind:     hidden_group_size_y
      - .offset:         224
        .size:           2
        .value_kind:     hidden_group_size_z
      - .offset:         226
        .size:           2
        .value_kind:     hidden_remainder_x
      - .offset:         228
        .size:           2
        .value_kind:     hidden_remainder_y
      - .offset:         230
        .size:           2
        .value_kind:     hidden_remainder_z
      - .offset:         248
        .size:           8
        .value_kind:     hidden_global_offset_x
      - .offset:         256
        .size:           8
        .value_kind:     hidden_global_offset_y
      - .offset:         264
        .size:           8
        .value_kind:     hidden_global_offset_z
      - .offset:         272
        .size:           2
        .value_kind:     hidden_grid_dims
    .group_segment_fixed_size: 19456
    .kernarg_segment_align: 8
    .kernarg_segment_size: 464
    .language:       OpenCL C
    .language_version:
      - 2
      - 0
    .max_flat_workgroup_size: 256
    .name:           _ZL15flash_attn_tileILi576ELi512ELi2ELi4ELb0EEvPKcS1_S1_S1_S1_PKiPfP15HIP_vector_typeIfLj2EEffffjfiS5_IjLj3EEiiiiiiiiiiiliiliiiiil
    .private_segment_fixed_size: 0
    .sgpr_count:     56
    .sgpr_spill_count: 0
    .symbol:         _ZL15flash_attn_tileILi576ELi512ELi2ELi4ELb0EEvPKcS1_S1_S1_S1_PKiPfP15HIP_vector_typeIfLj2EEffffjfiS5_IjLj3EEiiiiiiiiiiiliiliiiiil.kd
    .uniform_work_group_size: 1
    .uses_dynamic_stack: false
    .vgpr_count:     86
    .vgpr_spill_count: 0
    .wavefront_size: 64
  - .args:
      - .address_space:  global
        .offset:         0
        .size:           8
        .value_kind:     global_buffer
      - .address_space:  global
        .offset:         8
        .size:           8
        .value_kind:     global_buffer
      - .offset:         16
        .size:           4
        .value_kind:     by_value
      - .offset:         20
        .size:           4
        .value_kind:     by_value
      - .offset:         24
        .size:           4
        .value_kind:     by_value
      - .offset:         28
        .size:           4
        .value_kind:     by_value
      - .offset:         32
        .size:           4
        .value_kind:     by_value
      - .offset:         36
        .size:           4
        .value_kind:     by_value
      - .offset:         40
        .size:           12
        .value_kind:     by_value
      - .offset:         52
        .size:           12
        .value_kind:     by_value
      - .offset:         64
        .size:           12
        .value_kind:     by_value
    .group_segment_fixed_size: 0
    .kernarg_segment_align: 8
    .kernarg_segment_size: 76
    .language:       OpenCL C
    .language_version:
      - 2
      - 0
    .max_flat_workgroup_size: 512
    .name:           _ZL33flash_attn_stream_k_fixup_uniformILi512ELi2ELi4EEvPfPK15HIP_vector_typeIfLj2EEiiiiiiS1_IjLj3EES5_S5_
    .private_segment_fixed_size: 0
    .sgpr_count:     24
    .sgpr_spill_count: 0
    .symbol:         _ZL33flash_attn_stream_k_fixup_uniformILi512ELi2ELi4EEvPfPK15HIP_vector_typeIfLj2EEiiiiiiS1_IjLj3EES5_S5_.kd
    .uniform_work_group_size: 1
    .uses_dynamic_stack: false
    .vgpr_count:     17
    .vgpr_spill_count: 0
    .wavefront_size: 64
  - .args:
      - .address_space:  global
        .offset:         0
        .size:           8
        .value_kind:     global_buffer
      - .address_space:  global
        .offset:         8
        .size:           8
        .value_kind:     global_buffer
      - .offset:         16
        .size:           4
        .value_kind:     by_value
      - .offset:         20
        .size:           4
        .value_kind:     by_value
      - .offset:         24
        .size:           4
        .value_kind:     by_value
      - .offset:         28
        .size:           4
        .value_kind:     by_value
      - .offset:         32
        .size:           12
        .value_kind:     by_value
      - .offset:         44
        .size:           12
        .value_kind:     by_value
      - .offset:         56
        .size:           12
        .value_kind:     by_value
      - .offset:         68
        .size:           12
        .value_kind:     by_value
      - .offset:         80
        .size:           4
        .value_kind:     hidden_block_count_x
      - .offset:         84
        .size:           4
        .value_kind:     hidden_block_count_y
      - .offset:         88
        .size:           4
        .value_kind:     hidden_block_count_z
      - .offset:         92
        .size:           2
        .value_kind:     hidden_group_size_x
      - .offset:         94
        .size:           2
        .value_kind:     hidden_group_size_y
      - .offset:         96
        .size:           2
        .value_kind:     hidden_group_size_z
      - .offset:         98
        .size:           2
        .value_kind:     hidden_remainder_x
      - .offset:         100
        .size:           2
        .value_kind:     hidden_remainder_y
      - .offset:         102
        .size:           2
        .value_kind:     hidden_remainder_z
      - .offset:         120
        .size:           8
        .value_kind:     hidden_global_offset_x
      - .offset:         128
        .size:           8
        .value_kind:     hidden_global_offset_y
      - .offset:         136
        .size:           8
        .value_kind:     hidden_global_offset_z
      - .offset:         144
        .size:           2
        .value_kind:     hidden_grid_dims
    .group_segment_fixed_size: 0
    .kernarg_segment_align: 8
    .kernarg_segment_size: 336
    .language:       OpenCL C
    .language_version:
      - 2
      - 0
    .max_flat_workgroup_size: 512
    .name:           _ZL33flash_attn_stream_k_fixup_generalILi512ELi2ELi4EEvPfPK15HIP_vector_typeIfLj2EEiiiiS1_IjLj3EES5_S5_S5_
    .private_segment_fixed_size: 0
    .sgpr_count:     40
    .sgpr_spill_count: 0
    .symbol:         _ZL33flash_attn_stream_k_fixup_generalILi512ELi2ELi4EEvPfPK15HIP_vector_typeIfLj2EEiiiiS1_IjLj3EES5_S5_S5_.kd
    .uniform_work_group_size: 1
    .uses_dynamic_stack: false
    .vgpr_count:     18
    .vgpr_spill_count: 0
    .wavefront_size: 64
  - .args:
      - .address_space:  global
        .offset:         0
        .size:           8
        .value_kind:     global_buffer
      - .address_space:  global
        .offset:         8
        .size:           8
        .value_kind:     global_buffer
      - .address_space:  global
        .offset:         16
        .size:           8
        .value_kind:     global_buffer
      - .address_space:  global
        .offset:         24
        .size:           8
        .value_kind:     global_buffer
      - .address_space:  global
        .offset:         32
        .size:           8
        .value_kind:     global_buffer
      - .address_space:  global
        .offset:         40
        .size:           8
        .value_kind:     global_buffer
      - .address_space:  global
        .offset:         48
        .size:           8
        .value_kind:     global_buffer
      - .address_space:  global
        .offset:         56
        .size:           8
        .value_kind:     global_buffer
      - .offset:         64
        .size:           4
        .value_kind:     by_value
      - .offset:         68
        .size:           4
        .value_kind:     by_value
      - .offset:         72
        .size:           4
        .value_kind:     by_value
      - .offset:         76
        .size:           4
        .value_kind:     by_value
      - .offset:         80
        .size:           4
        .value_kind:     by_value
      - .offset:         84
        .size:           4
        .value_kind:     by_value
      - .offset:         88
        .size:           4
        .value_kind:     by_value
      - .offset:         92
        .size:           12
        .value_kind:     by_value
      - .offset:         104
        .size:           4
        .value_kind:     by_value
      - .offset:         108
        .size:           4
        .value_kind:     by_value
      - .offset:         112
        .size:           4
        .value_kind:     by_value
      - .offset:         116
        .size:           4
        .value_kind:     by_value
      - .offset:         120
        .size:           4
        .value_kind:     by_value
      - .offset:         124
        .size:           4
        .value_kind:     by_value
      - .offset:         128
        .size:           4
        .value_kind:     by_value
      - .offset:         132
        .size:           4
        .value_kind:     by_value
      - .offset:         136
        .size:           4
        .value_kind:     by_value
      - .offset:         140
        .size:           4
        .value_kind:     by_value
      - .offset:         144
        .size:           4
        .value_kind:     by_value
      - .offset:         152
        .size:           8
        .value_kind:     by_value
      - .offset:         160
        .size:           4
        .value_kind:     by_value
      - .offset:         164
        .size:           4
        .value_kind:     by_value
      - .offset:         168
        .size:           8
        .value_kind:     by_value
      - .offset:         176
        .size:           4
        .value_kind:     by_value
      - .offset:         180
        .size:           4
        .value_kind:     by_value
      - .offset:         184
        .size:           4
        .value_kind:     by_value
      - .offset:         188
        .size:           4
        .value_kind:     by_value
      - .offset:         192
        .size:           4
        .value_kind:     by_value
      - .offset:         200
        .size:           8
        .value_kind:     by_value
      - .offset:         208
        .size:           4
        .value_kind:     hidden_block_count_x
      - .offset:         212
        .size:           4
        .value_kind:     hidden_block_count_y
      - .offset:         216
        .size:           4
        .value_kind:     hidden_block_count_z
      - .offset:         220
        .size:           2
        .value_kind:     hidden_group_size_x
      - .offset:         222
        .size:           2
        .value_kind:     hidden_group_size_y
      - .offset:         224
        .size:           2
        .value_kind:     hidden_group_size_z
      - .offset:         226
        .size:           2
        .value_kind:     hidden_remainder_x
      - .offset:         228
        .size:           2
        .value_kind:     hidden_remainder_y
      - .offset:         230
        .size:           2
        .value_kind:     hidden_remainder_z
      - .offset:         248
        .size:           8
        .value_kind:     hidden_global_offset_x
      - .offset:         256
        .size:           8
        .value_kind:     hidden_global_offset_y
      - .offset:         264
        .size:           8
        .value_kind:     hidden_global_offset_z
      - .offset:         272
        .size:           2
        .value_kind:     hidden_grid_dims
    .group_segment_fixed_size: 14336
    .kernarg_segment_align: 8
    .kernarg_segment_size: 464
    .language:       OpenCL C
    .language_version:
      - 2
      - 0
    .max_flat_workgroup_size: 128
    .name:           _ZL15flash_attn_tileILi576ELi512ELi1ELi4ELb0EEvPKcS1_S1_S1_S1_PKiPfP15HIP_vector_typeIfLj2EEffffjfiS5_IjLj3EEiiiiiiiiiiiliiliiiiil
    .private_segment_fixed_size: 8
    .sgpr_count:     48
    .sgpr_spill_count: 0
    .symbol:         _ZL15flash_attn_tileILi576ELi512ELi1ELi4ELb0EEvPKcS1_S1_S1_S1_PKiPfP15HIP_vector_typeIfLj2EEffffjfiS5_IjLj3EEiiiiiiiiiiiliiliiiiil.kd
    .uniform_work_group_size: 1
    .uses_dynamic_stack: false
    .vgpr_count:     128
    .vgpr_spill_count: 1
    .wavefront_size: 64
  - .args:
      - .address_space:  global
        .offset:         0
        .size:           8
        .value_kind:     global_buffer
      - .address_space:  global
        .offset:         8
        .size:           8
        .value_kind:     global_buffer
      - .offset:         16
        .size:           4
        .value_kind:     by_value
      - .offset:         20
        .size:           4
        .value_kind:     by_value
      - .offset:         24
        .size:           4
        .value_kind:     by_value
      - .offset:         28
        .size:           4
        .value_kind:     by_value
      - .offset:         32
        .size:           4
        .value_kind:     by_value
      - .offset:         36
        .size:           4
        .value_kind:     by_value
      - .offset:         40
        .size:           12
        .value_kind:     by_value
      - .offset:         52
        .size:           12
        .value_kind:     by_value
      - .offset:         64
        .size:           12
        .value_kind:     by_value
    .group_segment_fixed_size: 0
    .kernarg_segment_align: 8
    .kernarg_segment_size: 76
    .language:       OpenCL C
    .language_version:
      - 2
      - 0
    .max_flat_workgroup_size: 512
    .name:           _ZL33flash_attn_stream_k_fixup_uniformILi512ELi1ELi4EEvPfPK15HIP_vector_typeIfLj2EEiiiiiiS1_IjLj3EES5_S5_
    .private_segment_fixed_size: 0
    .sgpr_count:     24
    .sgpr_spill_count: 0
    .symbol:         _ZL33flash_attn_stream_k_fixup_uniformILi512ELi1ELi4EEvPfPK15HIP_vector_typeIfLj2EEiiiiiiS1_IjLj3EES5_S5_.kd
    .uniform_work_group_size: 1
    .uses_dynamic_stack: false
    .vgpr_count:     17
    .vgpr_spill_count: 0
    .wavefront_size: 64
  - .args:
      - .address_space:  global
        .offset:         0
        .size:           8
        .value_kind:     global_buffer
      - .address_space:  global
        .offset:         8
        .size:           8
        .value_kind:     global_buffer
      - .offset:         16
        .size:           4
        .value_kind:     by_value
      - .offset:         20
        .size:           4
        .value_kind:     by_value
      - .offset:         24
        .size:           4
        .value_kind:     by_value
      - .offset:         28
        .size:           4
        .value_kind:     by_value
      - .offset:         32
        .size:           12
        .value_kind:     by_value
      - .offset:         44
        .size:           12
        .value_kind:     by_value
      - .offset:         56
        .size:           12
        .value_kind:     by_value
      - .offset:         68
        .size:           12
        .value_kind:     by_value
      - .offset:         80
        .size:           4
        .value_kind:     hidden_block_count_x
      - .offset:         84
        .size:           4
        .value_kind:     hidden_block_count_y
      - .offset:         88
        .size:           4
        .value_kind:     hidden_block_count_z
      - .offset:         92
        .size:           2
        .value_kind:     hidden_group_size_x
      - .offset:         94
        .size:           2
        .value_kind:     hidden_group_size_y
      - .offset:         96
        .size:           2
        .value_kind:     hidden_group_size_z
      - .offset:         98
        .size:           2
        .value_kind:     hidden_remainder_x
      - .offset:         100
        .size:           2
        .value_kind:     hidden_remainder_y
      - .offset:         102
        .size:           2
        .value_kind:     hidden_remainder_z
      - .offset:         120
        .size:           8
        .value_kind:     hidden_global_offset_x
      - .offset:         128
        .size:           8
        .value_kind:     hidden_global_offset_y
      - .offset:         136
        .size:           8
        .value_kind:     hidden_global_offset_z
      - .offset:         144
        .size:           2
        .value_kind:     hidden_grid_dims
    .group_segment_fixed_size: 0
    .kernarg_segment_align: 8
    .kernarg_segment_size: 336
    .language:       OpenCL C
    .language_version:
      - 2
      - 0
    .max_flat_workgroup_size: 512
    .name:           _ZL33flash_attn_stream_k_fixup_generalILi512ELi1ELi4EEvPfPK15HIP_vector_typeIfLj2EEiiiiS1_IjLj3EES5_S5_S5_
    .private_segment_fixed_size: 0
    .sgpr_count:     41
    .sgpr_spill_count: 0
    .symbol:         _ZL33flash_attn_stream_k_fixup_generalILi512ELi1ELi4EEvPfPK15HIP_vector_typeIfLj2EEiiiiS1_IjLj3EES5_S5_S5_.kd
    .uniform_work_group_size: 1
    .uses_dynamic_stack: false
    .vgpr_count:     18
    .vgpr_spill_count: 0
    .wavefront_size: 64
  - .args:
      - .address_space:  global
        .offset:         0
        .size:           8
        .value_kind:     global_buffer
      - .address_space:  global
        .offset:         8
        .size:           8
        .value_kind:     global_buffer
      - .address_space:  global
        .offset:         16
        .size:           8
        .value_kind:     global_buffer
      - .address_space:  global
        .offset:         24
        .size:           8
        .value_kind:     global_buffer
      - .address_space:  global
        .offset:         32
        .size:           8
        .value_kind:     global_buffer
      - .address_space:  global
        .offset:         40
        .size:           8
        .value_kind:     global_buffer
      - .address_space:  global
        .offset:         48
        .size:           8
        .value_kind:     global_buffer
      - .address_space:  global
        .offset:         56
        .size:           8
        .value_kind:     global_buffer
      - .offset:         64
        .size:           4
        .value_kind:     by_value
      - .offset:         68
        .size:           4
        .value_kind:     by_value
      - .offset:         72
        .size:           4
        .value_kind:     by_value
      - .offset:         76
        .size:           4
        .value_kind:     by_value
      - .offset:         80
        .size:           4
        .value_kind:     by_value
      - .offset:         84
        .size:           4
        .value_kind:     by_value
      - .offset:         88
        .size:           4
        .value_kind:     by_value
      - .offset:         92
        .size:           12
        .value_kind:     by_value
      - .offset:         104
        .size:           4
        .value_kind:     by_value
      - .offset:         108
        .size:           4
        .value_kind:     by_value
      - .offset:         112
        .size:           4
        .value_kind:     by_value
      - .offset:         116
        .size:           4
        .value_kind:     by_value
      - .offset:         120
        .size:           4
        .value_kind:     by_value
      - .offset:         124
        .size:           4
        .value_kind:     by_value
      - .offset:         128
        .size:           4
        .value_kind:     by_value
      - .offset:         132
        .size:           4
        .value_kind:     by_value
      - .offset:         136
        .size:           4
        .value_kind:     by_value
      - .offset:         140
        .size:           4
        .value_kind:     by_value
      - .offset:         144
        .size:           4
        .value_kind:     by_value
      - .offset:         152
        .size:           8
        .value_kind:     by_value
      - .offset:         160
        .size:           4
        .value_kind:     by_value
      - .offset:         164
        .size:           4
        .value_kind:     by_value
      - .offset:         168
        .size:           8
        .value_kind:     by_value
      - .offset:         176
        .size:           4
        .value_kind:     by_value
      - .offset:         180
        .size:           4
        .value_kind:     by_value
      - .offset:         184
        .size:           4
        .value_kind:     by_value
      - .offset:         188
        .size:           4
        .value_kind:     by_value
      - .offset:         192
        .size:           4
        .value_kind:     by_value
      - .offset:         200
        .size:           8
        .value_kind:     by_value
      - .offset:         208
        .size:           4
        .value_kind:     hidden_block_count_x
      - .offset:         212
        .size:           4
        .value_kind:     hidden_block_count_y
      - .offset:         216
        .size:           4
        .value_kind:     hidden_block_count_z
      - .offset:         220
        .size:           2
        .value_kind:     hidden_group_size_x
      - .offset:         222
        .size:           2
        .value_kind:     hidden_group_size_y
      - .offset:         224
        .size:           2
        .value_kind:     hidden_group_size_z
      - .offset:         226
        .size:           2
        .value_kind:     hidden_remainder_x
      - .offset:         228
        .size:           2
        .value_kind:     hidden_remainder_y
      - .offset:         230
        .size:           2
        .value_kind:     hidden_remainder_z
      - .offset:         248
        .size:           8
        .value_kind:     hidden_global_offset_x
      - .offset:         256
        .size:           8
        .value_kind:     hidden_global_offset_y
      - .offset:         264
        .size:           8
        .value_kind:     hidden_global_offset_z
      - .offset:         272
        .size:           2
        .value_kind:     hidden_grid_dims
    .group_segment_fixed_size: 63488
    .kernarg_segment_align: 8
    .kernarg_segment_size: 464
    .language:       OpenCL C
    .language_version:
      - 2
      - 0
    .max_flat_workgroup_size: 512
    .name:           _ZL15flash_attn_tileILi576ELi512ELi2ELi16ELb1EEvPKcS1_S1_S1_S1_PKiPfP15HIP_vector_typeIfLj2EEffffjfiS5_IjLj3EEiiiiiiiiiiiliiliiiiil
    .private_segment_fixed_size: 0
    .sgpr_count:     48
    .sgpr_spill_count: 0
    .symbol:         _ZL15flash_attn_tileILi576ELi512ELi2ELi16ELb1EEvPKcS1_S1_S1_S1_PKiPfP15HIP_vector_typeIfLj2EEffffjfiS5_IjLj3EEiiiiiiiiiiiliiliiiiil.kd
    .uniform_work_group_size: 1
    .uses_dynamic_stack: false
    .vgpr_count:     109
    .vgpr_spill_count: 0
    .wavefront_size: 64
  - .args:
      - .address_space:  global
        .offset:         0
        .size:           8
        .value_kind:     global_buffer
      - .address_space:  global
        .offset:         8
        .size:           8
        .value_kind:     global_buffer
      - .address_space:  global
        .offset:         16
        .size:           8
        .value_kind:     global_buffer
      - .address_space:  global
        .offset:         24
        .size:           8
        .value_kind:     global_buffer
      - .address_space:  global
        .offset:         32
        .size:           8
        .value_kind:     global_buffer
      - .address_space:  global
        .offset:         40
        .size:           8
        .value_kind:     global_buffer
      - .address_space:  global
        .offset:         48
        .size:           8
        .value_kind:     global_buffer
      - .address_space:  global
        .offset:         56
        .size:           8
        .value_kind:     global_buffer
      - .offset:         64
        .size:           4
        .value_kind:     by_value
      - .offset:         68
        .size:           4
        .value_kind:     by_value
      - .offset:         72
        .size:           4
        .value_kind:     by_value
      - .offset:         76
        .size:           4
        .value_kind:     by_value
      - .offset:         80
        .size:           4
        .value_kind:     by_value
      - .offset:         84
        .size:           4
        .value_kind:     by_value
      - .offset:         88
        .size:           4
        .value_kind:     by_value
      - .offset:         92
        .size:           12
        .value_kind:     by_value
      - .offset:         104
        .size:           4
        .value_kind:     by_value
      - .offset:         108
        .size:           4
        .value_kind:     by_value
      - .offset:         112
        .size:           4
        .value_kind:     by_value
      - .offset:         116
        .size:           4
        .value_kind:     by_value
      - .offset:         120
        .size:           4
        .value_kind:     by_value
      - .offset:         124
        .size:           4
        .value_kind:     by_value
      - .offset:         128
        .size:           4
        .value_kind:     by_value
      - .offset:         132
        .size:           4
        .value_kind:     by_value
      - .offset:         136
        .size:           4
        .value_kind:     by_value
      - .offset:         140
        .size:           4
        .value_kind:     by_value
      - .offset:         144
        .size:           4
        .value_kind:     by_value
      - .offset:         152
        .size:           8
        .value_kind:     by_value
      - .offset:         160
        .size:           4
        .value_kind:     by_value
      - .offset:         164
        .size:           4
        .value_kind:     by_value
      - .offset:         168
        .size:           8
        .value_kind:     by_value
      - .offset:         176
        .size:           4
        .value_kind:     by_value
      - .offset:         180
        .size:           4
        .value_kind:     by_value
      - .offset:         184
        .size:           4
        .value_kind:     by_value
      - .offset:         188
        .size:           4
        .value_kind:     by_value
      - .offset:         192
        .size:           4
        .value_kind:     by_value
      - .offset:         200
        .size:           8
        .value_kind:     by_value
      - .offset:         208
        .size:           4
        .value_kind:     hidden_block_count_x
      - .offset:         212
        .size:           4
        .value_kind:     hidden_block_count_y
      - .offset:         216
        .size:           4
        .value_kind:     hidden_block_count_z
      - .offset:         220
        .size:           2
        .value_kind:     hidden_group_size_x
      - .offset:         222
        .size:           2
        .value_kind:     hidden_group_size_y
      - .offset:         224
        .size:           2
        .value_kind:     hidden_group_size_z
      - .offset:         226
        .size:           2
        .value_kind:     hidden_remainder_x
      - .offset:         228
        .size:           2
        .value_kind:     hidden_remainder_y
      - .offset:         230
        .size:           2
        .value_kind:     hidden_remainder_z
      - .offset:         248
        .size:           8
        .value_kind:     hidden_global_offset_x
      - .offset:         256
        .size:           8
        .value_kind:     hidden_global_offset_y
      - .offset:         264
        .size:           8
        .value_kind:     hidden_global_offset_z
      - .offset:         272
        .size:           2
        .value_kind:     hidden_grid_dims
    .group_segment_fixed_size: 29696
    .kernarg_segment_align: 8
    .kernarg_segment_size: 464
    .language:       OpenCL C
    .language_version:
      - 2
      - 0
    .max_flat_workgroup_size: 256
    .name:           _ZL15flash_attn_tileILi576ELi512ELi1ELi16ELb1EEvPKcS1_S1_S1_S1_PKiPfP15HIP_vector_typeIfLj2EEffffjfiS5_IjLj3EEiiiiiiiiiiiliiliiiiil
    .private_segment_fixed_size: 0
    .sgpr_count:     48
    .sgpr_spill_count: 0
    .symbol:         _ZL15flash_attn_tileILi576ELi512ELi1ELi16ELb1EEvPKcS1_S1_S1_S1_PKiPfP15HIP_vector_typeIfLj2EEffffjfiS5_IjLj3EEiiiiiiiiiiiliiliiiiil.kd
    .uniform_work_group_size: 1
    .uses_dynamic_stack: false
    .vgpr_count:     106
    .vgpr_spill_count: 0
    .wavefront_size: 64
  - .args:
      - .address_space:  global
        .offset:         0
        .size:           8
        .value_kind:     global_buffer
      - .address_space:  global
        .offset:         8
        .size:           8
        .value_kind:     global_buffer
      - .address_space:  global
        .offset:         16
        .size:           8
        .value_kind:     global_buffer
      - .address_space:  global
        .offset:         24
        .size:           8
        .value_kind:     global_buffer
      - .address_space:  global
        .offset:         32
        .size:           8
        .value_kind:     global_buffer
      - .address_space:  global
        .offset:         40
        .size:           8
        .value_kind:     global_buffer
      - .address_space:  global
        .offset:         48
        .size:           8
        .value_kind:     global_buffer
      - .address_space:  global
        .offset:         56
        .size:           8
        .value_kind:     global_buffer
      - .offset:         64
        .size:           4
        .value_kind:     by_value
      - .offset:         68
        .size:           4
        .value_kind:     by_value
      - .offset:         72
        .size:           4
        .value_kind:     by_value
      - .offset:         76
        .size:           4
        .value_kind:     by_value
      - .offset:         80
        .size:           4
        .value_kind:     by_value
      - .offset:         84
        .size:           4
        .value_kind:     by_value
      - .offset:         88
        .size:           4
        .value_kind:     by_value
      - .offset:         92
        .size:           12
        .value_kind:     by_value
      - .offset:         104
        .size:           4
        .value_kind:     by_value
      - .offset:         108
        .size:           4
        .value_kind:     by_value
      - .offset:         112
        .size:           4
        .value_kind:     by_value
      - .offset:         116
        .size:           4
        .value_kind:     by_value
      - .offset:         120
        .size:           4
        .value_kind:     by_value
      - .offset:         124
        .size:           4
        .value_kind:     by_value
      - .offset:         128
        .size:           4
        .value_kind:     by_value
      - .offset:         132
        .size:           4
        .value_kind:     by_value
      - .offset:         136
        .size:           4
        .value_kind:     by_value
      - .offset:         140
        .size:           4
        .value_kind:     by_value
      - .offset:         144
        .size:           4
        .value_kind:     by_value
      - .offset:         152
        .size:           8
        .value_kind:     by_value
      - .offset:         160
        .size:           4
        .value_kind:     by_value
      - .offset:         164
        .size:           4
        .value_kind:     by_value
      - .offset:         168
        .size:           8
        .value_kind:     by_value
      - .offset:         176
        .size:           4
        .value_kind:     by_value
      - .offset:         180
        .size:           4
        .value_kind:     by_value
      - .offset:         184
        .size:           4
        .value_kind:     by_value
      - .offset:         188
        .size:           4
        .value_kind:     by_value
      - .offset:         192
        .size:           4
        .value_kind:     by_value
      - .offset:         200
        .size:           8
        .value_kind:     by_value
      - .offset:         208
        .size:           4
        .value_kind:     hidden_block_count_x
      - .offset:         212
        .size:           4
        .value_kind:     hidden_block_count_y
      - .offset:         216
        .size:           4
        .value_kind:     hidden_block_count_z
      - .offset:         220
        .size:           2
        .value_kind:     hidden_group_size_x
      - .offset:         222
        .size:           2
        .value_kind:     hidden_group_size_y
      - .offset:         224
        .size:           2
        .value_kind:     hidden_group_size_z
      - .offset:         226
        .size:           2
        .value_kind:     hidden_remainder_x
      - .offset:         228
        .size:           2
        .value_kind:     hidden_remainder_y
      - .offset:         230
        .size:           2
        .value_kind:     hidden_remainder_z
      - .offset:         248
        .size:           8
        .value_kind:     hidden_global_offset_x
      - .offset:         256
        .size:           8
        .value_kind:     hidden_global_offset_y
      - .offset:         264
        .size:           8
        .value_kind:     hidden_global_offset_z
      - .offset:         272
        .size:           2
        .value_kind:     hidden_grid_dims
    .group_segment_fixed_size: 63488
    .kernarg_segment_align: 8
    .kernarg_segment_size: 464
    .language:       OpenCL C
    .language_version:
      - 2
      - 0
    .max_flat_workgroup_size: 512
    .name:           _ZL15flash_attn_tileILi576ELi512ELi8ELi4ELb1EEvPKcS1_S1_S1_S1_PKiPfP15HIP_vector_typeIfLj2EEffffjfiS5_IjLj3EEiiiiiiiiiiiliiliiiiil
    .private_segment_fixed_size: 0
    .sgpr_count:     48
    .sgpr_spill_count: 0
    .symbol:         _ZL15flash_attn_tileILi576ELi512ELi8ELi4ELb1EEvPKcS1_S1_S1_S1_PKiPfP15HIP_vector_typeIfLj2EEffffjfiS5_IjLj3EEiiiiiiiiiiiliiliiiiil.kd
    .uniform_work_group_size: 1
    .uses_dynamic_stack: false
    .vgpr_count:     109
    .vgpr_spill_count: 0
    .wavefront_size: 64
  - .args:
      - .address_space:  global
        .offset:         0
        .size:           8
        .value_kind:     global_buffer
      - .address_space:  global
        .offset:         8
        .size:           8
        .value_kind:     global_buffer
      - .address_space:  global
        .offset:         16
        .size:           8
        .value_kind:     global_buffer
      - .address_space:  global
        .offset:         24
        .size:           8
        .value_kind:     global_buffer
      - .address_space:  global
        .offset:         32
        .size:           8
        .value_kind:     global_buffer
      - .address_space:  global
        .offset:         40
        .size:           8
        .value_kind:     global_buffer
      - .address_space:  global
        .offset:         48
        .size:           8
        .value_kind:     global_buffer
      - .address_space:  global
        .offset:         56
        .size:           8
        .value_kind:     global_buffer
      - .offset:         64
        .size:           4
        .value_kind:     by_value
      - .offset:         68
        .size:           4
        .value_kind:     by_value
      - .offset:         72
        .size:           4
        .value_kind:     by_value
      - .offset:         76
        .size:           4
        .value_kind:     by_value
      - .offset:         80
        .size:           4
        .value_kind:     by_value
      - .offset:         84
        .size:           4
        .value_kind:     by_value
      - .offset:         88
        .size:           4
        .value_kind:     by_value
      - .offset:         92
        .size:           12
        .value_kind:     by_value
      - .offset:         104
        .size:           4
        .value_kind:     by_value
      - .offset:         108
        .size:           4
        .value_kind:     by_value
      - .offset:         112
        .size:           4
        .value_kind:     by_value
      - .offset:         116
        .size:           4
        .value_kind:     by_value
      - .offset:         120
        .size:           4
        .value_kind:     by_value
      - .offset:         124
        .size:           4
        .value_kind:     by_value
      - .offset:         128
        .size:           4
        .value_kind:     by_value
      - .offset:         132
        .size:           4
        .value_kind:     by_value
      - .offset:         136
        .size:           4
        .value_kind:     by_value
      - .offset:         140
        .size:           4
        .value_kind:     by_value
      - .offset:         144
        .size:           4
        .value_kind:     by_value
      - .offset:         152
        .size:           8
        .value_kind:     by_value
      - .offset:         160
        .size:           4
        .value_kind:     by_value
      - .offset:         164
        .size:           4
        .value_kind:     by_value
      - .offset:         168
        .size:           8
        .value_kind:     by_value
      - .offset:         176
        .size:           4
        .value_kind:     by_value
      - .offset:         180
        .size:           4
        .value_kind:     by_value
      - .offset:         184
        .size:           4
        .value_kind:     by_value
      - .offset:         188
        .size:           4
        .value_kind:     by_value
      - .offset:         192
        .size:           4
        .value_kind:     by_value
      - .offset:         200
        .size:           8
        .value_kind:     by_value
      - .offset:         208
        .size:           4
        .value_kind:     hidden_block_count_x
      - .offset:         212
        .size:           4
        .value_kind:     hidden_block_count_y
      - .offset:         216
        .size:           4
        .value_kind:     hidden_block_count_z
      - .offset:         220
        .size:           2
        .value_kind:     hidden_group_size_x
      - .offset:         222
        .size:           2
        .value_kind:     hidden_group_size_y
      - .offset:         224
        .size:           2
        .value_kind:     hidden_group_size_z
      - .offset:         226
        .size:           2
        .value_kind:     hidden_remainder_x
      - .offset:         228
        .size:           2
        .value_kind:     hidden_remainder_y
      - .offset:         230
        .size:           2
        .value_kind:     hidden_remainder_z
      - .offset:         248
        .size:           8
        .value_kind:     hidden_global_offset_x
      - .offset:         256
        .size:           8
        .value_kind:     hidden_global_offset_y
      - .offset:         264
        .size:           8
        .value_kind:     hidden_global_offset_z
      - .offset:         272
        .size:           2
        .value_kind:     hidden_grid_dims
    .group_segment_fixed_size: 29696
    .kernarg_segment_align: 8
    .kernarg_segment_size: 464
    .language:       OpenCL C
    .language_version:
      - 2
      - 0
    .max_flat_workgroup_size: 256
    .name:           _ZL15flash_attn_tileILi576ELi512ELi4ELi4ELb1EEvPKcS1_S1_S1_S1_PKiPfP15HIP_vector_typeIfLj2EEffffjfiS5_IjLj3EEiiiiiiiiiiiliiliiiiil
    .private_segment_fixed_size: 0
    .sgpr_count:     48
    .sgpr_spill_count: 0
    .symbol:         _ZL15flash_attn_tileILi576ELi512ELi4ELi4ELb1EEvPKcS1_S1_S1_S1_PKiPfP15HIP_vector_typeIfLj2EEffffjfiS5_IjLj3EEiiiiiiiiiiiliiliiiiil.kd
    .uniform_work_group_size: 1
    .uses_dynamic_stack: false
    .vgpr_count:     106
    .vgpr_spill_count: 0
    .wavefront_size: 64
  - .args:
      - .address_space:  global
        .offset:         0
        .size:           8
        .value_kind:     global_buffer
      - .address_space:  global
        .offset:         8
        .size:           8
        .value_kind:     global_buffer
      - .address_space:  global
        .offset:         16
        .size:           8
        .value_kind:     global_buffer
      - .address_space:  global
        .offset:         24
        .size:           8
        .value_kind:     global_buffer
      - .address_space:  global
        .offset:         32
        .size:           8
        .value_kind:     global_buffer
      - .address_space:  global
        .offset:         40
        .size:           8
        .value_kind:     global_buffer
      - .address_space:  global
        .offset:         48
        .size:           8
        .value_kind:     global_buffer
      - .address_space:  global
        .offset:         56
        .size:           8
        .value_kind:     global_buffer
      - .offset:         64
        .size:           4
        .value_kind:     by_value
      - .offset:         68
        .size:           4
        .value_kind:     by_value
      - .offset:         72
        .size:           4
        .value_kind:     by_value
      - .offset:         76
        .size:           4
        .value_kind:     by_value
      - .offset:         80
        .size:           4
        .value_kind:     by_value
      - .offset:         84
        .size:           4
        .value_kind:     by_value
      - .offset:         88
        .size:           4
        .value_kind:     by_value
      - .offset:         92
        .size:           12
        .value_kind:     by_value
      - .offset:         104
        .size:           4
        .value_kind:     by_value
      - .offset:         108
        .size:           4
        .value_kind:     by_value
      - .offset:         112
        .size:           4
        .value_kind:     by_value
      - .offset:         116
        .size:           4
        .value_kind:     by_value
      - .offset:         120
        .size:           4
        .value_kind:     by_value
      - .offset:         124
        .size:           4
        .value_kind:     by_value
      - .offset:         128
        .size:           4
        .value_kind:     by_value
      - .offset:         132
        .size:           4
        .value_kind:     by_value
      - .offset:         136
        .size:           4
        .value_kind:     by_value
      - .offset:         140
        .size:           4
        .value_kind:     by_value
      - .offset:         144
        .size:           4
        .value_kind:     by_value
      - .offset:         152
        .size:           8
        .value_kind:     by_value
      - .offset:         160
        .size:           4
        .value_kind:     by_value
      - .offset:         164
        .size:           4
        .value_kind:     by_value
      - .offset:         168
        .size:           8
        .value_kind:     by_value
      - .offset:         176
        .size:           4
        .value_kind:     by_value
      - .offset:         180
        .size:           4
        .value_kind:     by_value
      - .offset:         184
        .size:           4
        .value_kind:     by_value
      - .offset:         188
        .size:           4
        .value_kind:     by_value
      - .offset:         192
        .size:           4
        .value_kind:     by_value
      - .offset:         200
        .size:           8
        .value_kind:     by_value
      - .offset:         208
        .size:           4
        .value_kind:     hidden_block_count_x
      - .offset:         212
        .size:           4
        .value_kind:     hidden_block_count_y
      - .offset:         216
        .size:           4
        .value_kind:     hidden_block_count_z
      - .offset:         220
        .size:           2
        .value_kind:     hidden_group_size_x
      - .offset:         222
        .size:           2
        .value_kind:     hidden_group_size_y
      - .offset:         224
        .size:           2
        .value_kind:     hidden_group_size_z
      - .offset:         226
        .size:           2
        .value_kind:     hidden_remainder_x
      - .offset:         228
        .size:           2
        .value_kind:     hidden_remainder_y
      - .offset:         230
        .size:           2
        .value_kind:     hidden_remainder_z
      - .offset:         248
        .size:           8
        .value_kind:     hidden_global_offset_x
      - .offset:         256
        .size:           8
        .value_kind:     hidden_global_offset_y
      - .offset:         264
        .size:           8
        .value_kind:     hidden_global_offset_z
      - .offset:         272
        .size:           2
        .value_kind:     hidden_grid_dims
    .group_segment_fixed_size: 19456
    .kernarg_segment_align: 8
    .kernarg_segment_size: 464
    .language:       OpenCL C
    .language_version:
      - 2
      - 0
    .max_flat_workgroup_size: 256
    .name:           _ZL15flash_attn_tileILi576ELi512ELi2ELi4ELb1EEvPKcS1_S1_S1_S1_PKiPfP15HIP_vector_typeIfLj2EEffffjfiS5_IjLj3EEiiiiiiiiiiiliiliiiiil
    .private_segment_fixed_size: 0
    .sgpr_count:     44
    .sgpr_spill_count: 0
    .symbol:         _ZL15flash_attn_tileILi576ELi512ELi2ELi4ELb1EEvPKcS1_S1_S1_S1_PKiPfP15HIP_vector_typeIfLj2EEffffjfiS5_IjLj3EEiiiiiiiiiiiliiliiiiil.kd
    .uniform_work_group_size: 1
    .uses_dynamic_stack: false
    .vgpr_count:     58
    .vgpr_spill_count: 0
    .wavefront_size: 64
  - .args:
      - .address_space:  global
        .offset:         0
        .size:           8
        .value_kind:     global_buffer
      - .address_space:  global
        .offset:         8
        .size:           8
        .value_kind:     global_buffer
      - .address_space:  global
        .offset:         16
        .size:           8
        .value_kind:     global_buffer
      - .address_space:  global
        .offset:         24
        .size:           8
        .value_kind:     global_buffer
      - .address_space:  global
        .offset:         32
        .size:           8
        .value_kind:     global_buffer
      - .address_space:  global
        .offset:         40
        .size:           8
        .value_kind:     global_buffer
      - .address_space:  global
        .offset:         48
        .size:           8
        .value_kind:     global_buffer
      - .address_space:  global
        .offset:         56
        .size:           8
        .value_kind:     global_buffer
      - .offset:         64
        .size:           4
        .value_kind:     by_value
      - .offset:         68
        .size:           4
        .value_kind:     by_value
      - .offset:         72
        .size:           4
        .value_kind:     by_value
      - .offset:         76
        .size:           4
        .value_kind:     by_value
      - .offset:         80
        .size:           4
        .value_kind:     by_value
      - .offset:         84
        .size:           4
        .value_kind:     by_value
      - .offset:         88
        .size:           4
        .value_kind:     by_value
      - .offset:         92
        .size:           12
        .value_kind:     by_value
      - .offset:         104
        .size:           4
        .value_kind:     by_value
      - .offset:         108
        .size:           4
        .value_kind:     by_value
      - .offset:         112
        .size:           4
        .value_kind:     by_value
      - .offset:         116
        .size:           4
        .value_kind:     by_value
      - .offset:         120
        .size:           4
        .value_kind:     by_value
      - .offset:         124
        .size:           4
        .value_kind:     by_value
      - .offset:         128
        .size:           4
        .value_kind:     by_value
      - .offset:         132
        .size:           4
        .value_kind:     by_value
      - .offset:         136
        .size:           4
        .value_kind:     by_value
      - .offset:         140
        .size:           4
        .value_kind:     by_value
      - .offset:         144
        .size:           4
        .value_kind:     by_value
      - .offset:         152
        .size:           8
        .value_kind:     by_value
      - .offset:         160
        .size:           4
        .value_kind:     by_value
      - .offset:         164
        .size:           4
        .value_kind:     by_value
      - .offset:         168
        .size:           8
        .value_kind:     by_value
      - .offset:         176
        .size:           4
        .value_kind:     by_value
      - .offset:         180
        .size:           4
        .value_kind:     by_value
      - .offset:         184
        .size:           4
        .value_kind:     by_value
      - .offset:         188
        .size:           4
        .value_kind:     by_value
      - .offset:         192
        .size:           4
        .value_kind:     by_value
      - .offset:         200
        .size:           8
        .value_kind:     by_value
      - .offset:         208
        .size:           4
        .value_kind:     hidden_block_count_x
      - .offset:         212
        .size:           4
        .value_kind:     hidden_block_count_y
      - .offset:         216
        .size:           4
        .value_kind:     hidden_block_count_z
      - .offset:         220
        .size:           2
        .value_kind:     hidden_group_size_x
      - .offset:         222
        .size:           2
        .value_kind:     hidden_group_size_y
      - .offset:         224
        .size:           2
        .value_kind:     hidden_group_size_z
      - .offset:         226
        .size:           2
        .value_kind:     hidden_remainder_x
      - .offset:         228
        .size:           2
        .value_kind:     hidden_remainder_y
      - .offset:         230
        .size:           2
        .value_kind:     hidden_remainder_z
      - .offset:         248
        .size:           8
        .value_kind:     hidden_global_offset_x
      - .offset:         256
        .size:           8
        .value_kind:     hidden_global_offset_y
      - .offset:         264
        .size:           8
        .value_kind:     hidden_global_offset_z
      - .offset:         272
        .size:           2
        .value_kind:     hidden_grid_dims
    .group_segment_fixed_size: 14336
    .kernarg_segment_align: 8
    .kernarg_segment_size: 464
    .language:       OpenCL C
    .language_version:
      - 2
      - 0
    .max_flat_workgroup_size: 128
    .name:           _ZL15flash_attn_tileILi576ELi512ELi1ELi4ELb1EEvPKcS1_S1_S1_S1_PKiPfP15HIP_vector_typeIfLj2EEffffjfiS5_IjLj3EEiiiiiiiiiiiliiliiiiil
    .private_segment_fixed_size: 0
    .sgpr_count:     45
    .sgpr_spill_count: 0
    .symbol:         _ZL15flash_attn_tileILi576ELi512ELi1ELi4ELb1EEvPKcS1_S1_S1_S1_PKiPfP15HIP_vector_typeIfLj2EEffffjfiS5_IjLj3EEiiiiiiiiiiiliiliiiiil.kd
    .uniform_work_group_size: 1
    .uses_dynamic_stack: false
    .vgpr_count:     73
    .vgpr_spill_count: 0
    .wavefront_size: 64
amdhsa.target:   amdgcn-amd-amdhsa--gfx906
amdhsa.version:
  - 1
  - 2
...

	.end_amdgpu_metadata
